;; amdgpu-corpus repo=ROCm/aiter kind=harvested arch=n/a opt=n/a

/root/src/amdgpu-assembly/repos/ROCm__aiter/hsa/gfx942/fmoe_2stages/fmoe_stage1_bf16_pertokenInt8_g1u1_64x128_2tg_pf2.co:	file format elf64-amdgpu

Disassembly of section .text:

0000000000002a00 <_ZN5aiter49fmoe_stage1_bf16_pertokenInt8_g1u1_64x128_2tg_pf2E>:
	s_and_b32 s1, s1, 0xffff                                   // 000000002A00: 8601FF01 0000FFFF
	s_load_dwordx2 s[8:9], s[0:1], 0x0                         // 000000002A08: C0060200 00000000
	s_load_dwordx2 s[20:21], s[0:1], 0x10                      // 000000002A10: C0060500 00000010
	s_load_dwordx2 s[24:25], s[0:1], 0x20                      // 000000002A18: C0060600 00000020
	s_load_dwordx2 s[48:49], s[0:1], 0x30                      // 000000002A20: C0060C00 00000030
	s_load_dwordx2 s[28:29], s[0:1], 0x40                      // 000000002A28: C0060700 00000040
	s_load_dwordx2 s[32:33], s[0:1], 0x50                      // 000000002A30: C0060800 00000050
	s_load_dwordx2 s[36:37], s[0:1], 0x60                      // 000000002A38: C0060900 00000060
	s_load_dwordx2 s[12:13], s[0:1], 0x70                      // 000000002A40: C0060300 00000070
	s_load_dwordx2 s[44:45], s[0:1], 0x80                      // 000000002A48: C0060B00 00000080
	s_mov_b32 s89, 0                                           // 000000002A50: BED90080
	s_load_dword s64, s[0:1], 0x90                             // 000000002A54: C0021000 00000090
	s_load_dword s65, s[0:1], 0xa0                             // 000000002A5C: C0021040 000000A0
	s_load_dword s66, s[0:1], 0xb0                             // 000000002A64: C0021080 000000B0
	s_load_dword s67, s[0:1], 0xc0                             // 000000002A6C: C00210C0 000000C0
	s_load_dword s68, s[0:1], 0xd0                             // 000000002A74: C0021100 000000D0
	s_load_dword s69, s[0:1], 0xe0                             // 000000002A7C: C0021140 000000E0
	s_load_dword s71, s[0:1], 0xf0                             // 000000002A84: C00211C0 000000F0
	s_load_dword s72, s[0:1], 0x100                            // 000000002A8C: C0021200 00000100
	s_load_dword s74, s[0:1], 0x110                            // 000000002A94: C0021280 00000110
	s_load_dword s76, s[0:1], 0x120                            // 000000002A9C: C0021300 00000120
	s_load_dword s56, s[0:1], 0x130                            // 000000002AA4: C0020E00 00000130
	s_load_dword s88, s[0:1], 0x140                            // 000000002AAC: C0021600 00000140
	s_load_dword s89, s[0:1], 0x150                            // 000000002AB4: C0021640 00000150
	v_lshrrev_b32_e32 v1, 10, v0                               // 000000002ABC: 2002008A
	v_lshrrev_b32_e32 v2, 10, v1                               // 000000002AC0: 2004028A
	v_and_b32_e32 v2, 0x3ff, v2                                // 000000002AC4: 260404FF 000003FF
	v_and_b32_e32 v1, 0x3ff, v1                                // 000000002ACC: 260202FF 000003FF
	v_and_b32_e32 v0, 0x3ff, v0                                // 000000002AD4: 260000FF 000003FF
	v_lshrrev_b32_e32 v3, 6, v0                                // 000000002ADC: 20060086
	v_and_b32_e32 v0, 63, v0                                   // 000000002AE0: 260000BF
	s_mov_b32 s2, s2                                           // 000000002AE4: BE820002
	s_mov_b32 s3, s3                                           // 000000002AE8: BE830003
	s_mov_b32 s4, s4                                           // 000000002AEC: BE840004
	v_readfirstlane_b32 s7, v3                                 // 000000002AF0: 7E0E0503
	s_waitcnt lgkmcnt(0)                                       // 000000002AF4: BF8CC07F
	s_and_b32 s49, s49, 0xffff                                 // 000000002AF8: 8631FF31 0000FFFF
	s_load_dword s48, s[48:49], 0x0                            // 000000002B00: C0020C18 00000000
	s_and_b32 s45, s45, 0xffff                                 // 000000002B08: 862DFF2D 0000FFFF
	s_and_b32 s9, s9, 0xffff                                   // 000000002B10: 8609FF09 0000FFFF
	s_mul_i32 s60, s66, s68                                    // 000000002B18: 923C4442
	s_mul_i32 s61, s66, 4                                      // 000000002B1C: 923D8442
	s_mov_b32 s22, s60                                         // 000000002B20: BE96003C
	s_mov_b32 s26, -16                                         // 000000002B24: BE9A00D0
	s_mov_b32 s30, s61                                         // 000000002B28: BE9E003D
	s_mov_b32 s14, 0x100                                       // 000000002B2C: BE8E00FF 00000100
	s_mov_b32 s38, -16                                         // 000000002B34: BEA600D0
	s_mov_b32 s10, -16                                         // 000000002B38: BE8A00D0
	s_mov_b32 s34, 0x200                                       // 000000002B3C: BEA200FF 00000200
	s_mov_b32 s23, 0x20000                                     // 000000002B44: BE9700FF 00020000
	s_mov_b32 s27, 0x20000                                     // 000000002B4C: BE9B00FF 00020000
	s_mov_b32 s31, 0x20000                                     // 000000002B54: BE9F00FF 00020000
	s_mov_b32 s35, 0x20000                                     // 000000002B5C: BEA300FF 00020000
	s_mov_b32 s15, 0x20000                                     // 000000002B64: BE8F00FF 00020000
	s_mov_b32 s39, 0x20000                                     // 000000002B6C: BEA700FF 00020000
	s_mov_b32 s11, 0x20000                                     // 000000002B74: BE8B00FF 00020000
	s_and_b32 s21, s21, 0xffff                                 // 000000002B7C: 8615FF15 0000FFFF
	s_and_b32 s25, s25, 0xffff                                 // 000000002B84: 8619FF19 0000FFFF
	s_and_b32 s29, s29, 0xffff                                 // 000000002B8C: 861DFF1D 0000FFFF
	s_and_b32 s33, s33, 0xffff                                 // 000000002B94: 8621FF21 0000FFFF
	s_and_b32 s13, s13, 0xffff                                 // 000000002B9C: 860DFF0D 0000FFFF
	s_and_b32 s37, s37, 0xffff                                 // 000000002BA4: 8625FF25 0000FFFF
	s_or_b32 s21, s21, 0x40000                                 // 000000002BAC: 8715FF15 00040000
	s_or_b32 s25, s25, 0x40000                                 // 000000002BB4: 8719FF19 00040000
	s_or_b32 s29, s29, 0x40000                                 // 000000002BBC: 871DFF1D 00040000
	s_or_b32 s33, s33, 0x40000                                 // 000000002BC4: 8721FF21 00040000
	s_or_b32 s13, s13, 0x40000                                 // 000000002BCC: 870DFF0D 00040000
	s_or_b32 s37, s37, 0x40000                                 // 000000002BD4: 8725FF25 00040000
	v_accvgpr_write_b32 a95, 0                                 // 000000002BDC: D3D9405F 18000080
	v_mov_b32_e32 v119, 0                                      // 000000002BE4: 7EEE0280
	s_waitcnt lgkmcnt(0)                                       // 000000002BE8: BF8CC07F
	s_mul_i32 s60, s3, 64                                      // 000000002BEC: 923CC003
	s_cmp_lt_i32 s60, s48                                      // 000000002BF0: BF04303C
	s_cbranch_scc0 label_198C                                  // 000000002BF4: BF84190B
	s_mov_b32 s80, 0                                           // 000000002BF8: BED00080
	s_lshr_b32 s81, s64, s88                                   // 000000002BFC: 8F515840
	s_mul_i32 s60, s3, 4                                       // 000000002C00: 923C8403
	s_add_u32 s44, s60, s44                                    // 000000002C04: 802C2C3C
	s_addc_u32 s45, 0, s45                                     // 000000002C08: 822D2D80
	s_load_dword s5, s[44:45], 0x0                             // 000000002C0C: C0020156 00000000
	s_mul_i32 s60, s3, 64                                      // 000000002C14: 923CC003
	s_mul_i32 s60, 4, s60                                      // 000000002C18: 923C3C84
	s_add_u32 s12, s60, s12                                    // 000000002C1C: 800C0C3C
	s_addc_u32 s13, 0, s13                                     // 000000002C20: 820D0D80
	v_and_b32_e32 v4, 15, v0                                   // 000000002C24: 2608008F
	v_lshlrev_b32_e32 v4, 2, v4                                // 000000002C28: 24080882
	buffer_load_dword v28, v4, s[12:15], 0 offen               // 000000002C2C: E0501000 80031C04
	v_add_u32_e32 v4, 64, v4                                   // 000000002C34: 680808C0
	buffer_load_dword v29, v4, s[12:15], 0 offen               // 000000002C38: E0501000 80031D04
	v_add_u32_e32 v4, 64, v4                                   // 000000002C40: 680808C0
	buffer_load_dword v30, v4, s[12:15], 0 offen               // 000000002C44: E0501000 80031E04
	v_add_u32_e32 v4, 64, v4                                   // 000000002C4C: 680808C0
	buffer_load_dword v31, v4, s[12:15], 0 offen               // 000000002C50: E0501000 80031F04
	v_add_u32_e32 v4, 64, v4                                   // 000000002C58: 680808C0
	s_mul_i32 s60, 4, s7                                       // 000000002C5C: 923C0784
	v_lshlrev_b32_e32 v4, 4, v0                                // 000000002C60: 24080084
	v_add_u32_e32 v4, s60, v4                                  // 000000002C64: 6808083C
	buffer_load_dword v3, v4, s[12:15], 0 offen                // 000000002C68: E0501000 80030304
	v_mov_b32_e32 v56, 0                                       // 000000002C70: 7E700280
	v_mov_b32_e32 v88, 0                                       // 000000002C74: 7EB00280
	v_mov_b32_e32 v57, 0                                       // 000000002C78: 7E720280
	v_mov_b32_e32 v89, 0                                       // 000000002C7C: 7EB20280
	v_mov_b32_e32 v58, 0                                       // 000000002C80: 7E740280
	v_mov_b32_e32 v90, 0                                       // 000000002C84: 7EB40280
	v_mov_b32_e32 v59, 0                                       // 000000002C88: 7E760280
	v_mov_b32_e32 v91, 0                                       // 000000002C8C: 7EB60280
	v_mov_b32_e32 v60, 0                                       // 000000002C90: 7E780280
	v_mov_b32_e32 v92, 0                                       // 000000002C94: 7EB80280
	v_mov_b32_e32 v61, 0                                       // 000000002C98: 7E7A0280
	v_mov_b32_e32 v93, 0                                       // 000000002C9C: 7EBA0280
	v_mov_b32_e32 v62, 0                                       // 000000002CA0: 7E7C0280
	v_mov_b32_e32 v94, 0                                       // 000000002CA4: 7EBC0280
	v_mov_b32_e32 v63, 0                                       // 000000002CA8: 7E7E0280
	v_mov_b32_e32 v95, 0                                       // 000000002CAC: 7EBE0280
	v_mov_b32_e32 v64, 0                                       // 000000002CB0: 7E800280
	v_mov_b32_e32 v96, 0                                       // 000000002CB4: 7EC00280
	v_mov_b32_e32 v65, 0                                       // 000000002CB8: 7E820280
	v_mov_b32_e32 v97, 0                                       // 000000002CBC: 7EC20280
	v_mov_b32_e32 v66, 0                                       // 000000002CC0: 7E840280
	v_mov_b32_e32 v98, 0                                       // 000000002CC4: 7EC40280
	v_mov_b32_e32 v67, 0                                       // 000000002CC8: 7E860280
	v_mov_b32_e32 v99, 0                                       // 000000002CCC: 7EC60280
	v_mov_b32_e32 v68, 0                                       // 000000002CD0: 7E880280
	v_mov_b32_e32 v100, 0                                      // 000000002CD4: 7EC80280
	v_mov_b32_e32 v69, 0                                       // 000000002CD8: 7E8A0280
	v_mov_b32_e32 v101, 0                                      // 000000002CDC: 7ECA0280
	v_mov_b32_e32 v70, 0                                       // 000000002CE0: 7E8C0280
	v_mov_b32_e32 v102, 0                                      // 000000002CE4: 7ECC0280
	v_mov_b32_e32 v71, 0                                       // 000000002CE8: 7E8E0280
	v_mov_b32_e32 v103, 0                                      // 000000002CEC: 7ECE0280
	v_mov_b32_e32 v72, 0                                       // 000000002CF0: 7E900280
	v_mov_b32_e32 v104, 0                                      // 000000002CF4: 7ED00280
	v_mov_b32_e32 v73, 0                                       // 000000002CF8: 7E920280
	v_mov_b32_e32 v105, 0                                      // 000000002CFC: 7ED20280
	v_mov_b32_e32 v74, 0                                       // 000000002D00: 7E940280
	v_mov_b32_e32 v106, 0                                      // 000000002D04: 7ED40280
	v_mov_b32_e32 v75, 0                                       // 000000002D08: 7E960280
	v_mov_b32_e32 v107, 0                                      // 000000002D0C: 7ED60280
	v_mov_b32_e32 v76, 0                                       // 000000002D10: 7E980280
	v_mov_b32_e32 v108, 0                                      // 000000002D14: 7ED80280
	v_mov_b32_e32 v77, 0                                       // 000000002D18: 7E9A0280
	v_mov_b32_e32 v109, 0                                      // 000000002D1C: 7EDA0280
	v_mov_b32_e32 v78, 0                                       // 000000002D20: 7E9C0280
	v_mov_b32_e32 v110, 0                                      // 000000002D24: 7EDC0280
	v_mov_b32_e32 v79, 0                                       // 000000002D28: 7E9E0280
	v_mov_b32_e32 v111, 0                                      // 000000002D2C: 7EDE0280
	v_mov_b32_e32 v80, 0                                       // 000000002D30: 7EA00280
	v_mov_b32_e32 v112, 0                                      // 000000002D34: 7EE00280
	v_mov_b32_e32 v81, 0                                       // 000000002D38: 7EA20280
	v_mov_b32_e32 v113, 0                                      // 000000002D3C: 7EE20280
	v_mov_b32_e32 v82, 0                                       // 000000002D40: 7EA40280
	v_mov_b32_e32 v114, 0                                      // 000000002D44: 7EE40280
	v_mov_b32_e32 v83, 0                                       // 000000002D48: 7EA60280
	v_mov_b32_e32 v115, 0                                      // 000000002D4C: 7EE60280
	v_mov_b32_e32 v84, 0                                       // 000000002D50: 7EA80280
	v_mov_b32_e32 v116, 0                                      // 000000002D54: 7EE80280
	v_mov_b32_e32 v85, 0                                       // 000000002D58: 7EAA0280
	v_mov_b32_e32 v117, 0                                      // 000000002D5C: 7EEA0280
	v_mov_b32_e32 v86, 0                                       // 000000002D60: 7EAC0280
	v_mov_b32_e32 v118, 0                                      // 000000002D64: 7EEC0280
	v_mov_b32_e32 v87, 0                                       // 000000002D68: 7EAE0280
	v_mov_b32_e32 v119, 0                                      // 000000002D6C: 7EEE0280
	s_mul_i32 s60, s2, 0x100                                   // 000000002D70: 923CFF02 00000100
	s_cmp_eq_u32 s88, 0                                        // 000000002D78: BF068058
	s_cselect_b32 s61, 1, 2                                    // 000000002D7C: 853D8281
	s_mul_i32 s60, s60, s61                                    // 000000002D80: 923C3D3C
	s_mov_b32 s90, s8                                          // 000000002D84: BEDA0008
	s_mov_b32 s91, s9                                          // 000000002D88: BEDB0009
	s_add_u32 s8, s60, s8                                      // 000000002D8C: 8008083C
	s_addc_u32 s9, 0, s9                                       // 000000002D90: 82090980
	v_lshrrev_b32_e32 v4, 4, v0                                // 000000002D94: 20080084
	v_mul_lo_u32 v20, 34, v4                                   // 000000002D98: D2850014 000208A2
	v_and_b32_e32 v4, 15, v0                                   // 000000002DA0: 2608008F
	v_mul_lo_u32 v5, 2, v4                                     // 000000002DA4: D2850005 00020882
	v_add_u32_e32 v20, v5, v20                                 // 000000002DAC: 68282905
	s_mul_i32 s60, s7, 0x88                                    // 000000002DB0: 923CFF07 00000088
	v_add_u32_e32 v20, s60, v20                                // 000000002DB8: 6828283C
	v_lshlrev_b32_e32 v20, 2, v20                              // 000000002DBC: 24282882
	v_and_b32_e32 v4, 31, v0                                   // 000000002DC0: 2608009F
	v_lshrrev_b32_e32 v4, 1, v4                                // 000000002DC4: 20080881
	v_mul_lo_u32 v21, 34, v4                                   // 000000002DC8: D2850015 000208A2
	v_lshrrev_b32_e32 v4, 5, v0                                // 000000002DD0: 20080085
	v_mul_lo_u32 v4, 8, v4                                     // 000000002DD4: D2850004 00020888
	v_add_u32_e32 v21, v21, v4                                 // 000000002DDC: 682A0915
	v_and_b32_e32 v5, 1, v0                                    // 000000002DE0: 260A0081
	v_add_u32_e32 v21, v5, v21                                 // 000000002DE4: 682A2B05
	s_mul_i32 s60, s7, 2                                       // 000000002DE8: 923C8207
	v_add_u32_e32 v21, s60, v21                                // 000000002DEC: 682A2A3C
	v_lshlrev_b32_e32 v21, 2, v21                              // 000000002DF0: 242A2A82
	s_mul_i32 s60, s7, 0x820                                   // 000000002DF4: 923CFF07 00000820
	s_add_u32 s48, 0, s60                                      // 000000002DFC: 80303C80
	s_add_u32 s49, 0x2080, s48                                 // 000000002E00: 803130FF 00002080
	v_lshrrev_b32_e32 v4, 4, v0                                // 000000002E08: 20080084
	v_lshlrev_b32_e32 v5, 2, v4                                // 000000002E0C: 240A0882
	v_and_b32_e32 v4, 15, v0                                   // 000000002E10: 2608008F
	v_lshrrev_b32_e32 v6, 2, v4                                // 000000002E14: 200C0882
	v_lshlrev_b32_e32 v6, 5, v6                                // 000000002E18: 240C0C85
	v_add_u32_e32 v5, v6, v5                                   // 000000002E1C: 680A0B06
	v_and_b32_e32 v4, 3, v0                                    // 000000002E20: 26080083
	v_mul_u32_u24_e32 v6, 0x208, v4                            // 000000002E24: 100C08FF 00000208
	v_add_u32_e32 v5, v6, v5                                   // 000000002E2C: 680A0B06
	v_lshlrev_b32_e32 v2, 2, v5                                // 000000002E30: 24040A82
	s_waitcnt lgkmcnt(0)                                       // 000000002E34: BF8CC07F
	s_mul_i32 s60, s2, 0x80                                    // 000000002E38: 923CFF02 00000080
	s_mul_i32 s60, s60, s69                                    // 000000002E40: 923C453C
	s_mul_i32 s61, s5, s72                                     // 000000002E44: 923D4805
	s_add_u32 s60, s61, s60                                    // 000000002E48: 803C3C3D
	s_add_u32 s24, s60, s24                                    // 000000002E4C: 8018183C
	s_addc_u32 s25, 0, s25                                     // 000000002E50: 82191980
	s_lshr_b32 s60, s64, s88                                   // 000000002E54: 8F3C5840
	s_mul_i32 s60, s4, s60                                     // 000000002E58: 923C3C04
	s_lshr_b32 s60, s60, 7                                     // 000000002E5C: 8F3C873C
	s_mul_i32 s60, s60, 0x800                                  // 000000002E60: 923CFF3C 00000800
	s_add_u32 s24, s60, s24                                    // 000000002E68: 8018183C
	s_addc_u32 s25, 0, s25                                     // 000000002E6C: 82191980
	s_lshr_b32 s60, s69, s88                                   // 000000002E70: 8F3C5845
	s_mul_i32 s60, s4, s60                                     // 000000002E74: 923C3C04
	s_add_u32 s20, s60, s20                                    // 000000002E78: 8014143C
	s_addc_u32 s21, 0, s21                                     // 000000002E7C: 82151580
	s_mul_i32 s60, s7, 16                                      // 000000002E80: 923C9007
	s_mul_i32 s60, s60, s69                                    // 000000002E84: 923C453C
	v_lshlrev_b32_e32 v52, 4, v0                               // 000000002E88: 24680084
	v_add_u32_e32 v52, s60, v52                                // 000000002E8C: 6868683C
	s_mul_i32 s60, 64, s69                                     // 000000002E90: 923C45C0
	v_add_u32_e32 v53, s60, v52                                // 000000002E94: 686A683C
	s_mov_b32 s84, s24                                         // 000000002E98: BED40018
	s_mov_b32 s85, s25                                         // 000000002E9C: BED50019
	s_mov_b32 s86, s26                                         // 000000002EA0: BED6001A
	s_mov_b32 s87, s27                                         // 000000002EA4: BED7001B
	s_mul_i32 s60, s69, s65                                    // 000000002EA8: 923C4145
	s_add_u32 s84, s60, s84                                    // 000000002EAC: 8054543C
	s_addc_u32 s85, 0, s85                                     // 000000002EB0: 82555580
	v_lshrrev_b32_e32 v4, 4, v0                                // 000000002EB4: 20080084
	v_lshlrev_b32_e32 v5, 2, v4                                // 000000002EB8: 240A0882
	v_and_b32_e32 v4, 15, v0                                   // 000000002EBC: 2608008F
	v_lshrrev_b32_e32 v6, 2, v4                                // 000000002EC0: 200C0882
	v_lshlrev_b32_e32 v6, 6, v6                                // 000000002EC4: 240C0C86
	v_add_u32_e32 v5, v6, v5                                   // 000000002EC8: 680A0B06
	v_and_b32_e32 v4, 3, v0                                    // 000000002ECC: 26080083
	v_add_u32_e32 v5, v4, v5                                   // 000000002ED0: 680A0B04
	v_lshlrev_b32_e32 v22, 2, v5                               // 000000002ED4: 242C0A82
	s_mul_i32 s60, s7, 16                                      // 000000002ED8: 923C9007
	s_mul_i32 s60, s60, 4                                      // 000000002EDC: 923C843C
	v_add_u32_e32 v22, s60, v22                                // 000000002EE0: 682C2C3C
	s_mul_i32 s60, s2, 0x80                                    // 000000002EE4: 923CFF02 00000080
	s_mul_i32 s60, s60, 4                                      // 000000002EEC: 923C843C
	s_mul_i32 s61, s5, s74                                     // 000000002EF0: 923D4A05
	s_add_u32 s61, s61, s60                                    // 000000002EF4: 803D3C3D
	s_add_u32 s32, s61, s32                                    // 000000002EF8: 8020203D
	s_addc_u32 s33, 0, s33                                     // 000000002EFC: 82212180
	s_mov_b32 s57, 0x80                                        // 000000002F00: BEB900FF 00000080
	s_mov_b32 s58, 0x800                                       // 000000002F08: BEBA00FF 00000800
	s_mov_b32 s83, s58                                         // 000000002F10: BED3003A
	s_mov_b32 s52, 0x7060302                                   // 000000002F14: BEB400FF 07060302
	s_mov_b32 s53, 0x400                                       // 000000002F1C: BEB500FF 00000400
	s_mov_b32 s54, 0x40100                                     // 000000002F24: BEB600FF 00040100
	s_mov_b32 s55, 0x4020100                                   // 000000002F2C: BEB700FF 04020100
	s_mov_b32 s6, 0x3fb8aa3b                                   // 000000002F34: BE8600FF 3FB8AA3B
	s_mov_b32 s78, 0xbd92220c                                  // 000000002F3C: BECE00FF BD92220C
	s_mov_b32 s79, 0xbd92220c                                  // 000000002F44: BECF00FF BD92220C
	s_mov_b32 m0, s48                                          // 000000002F4C: BEFC0030
	v_mov_b32_e32 v1, 0xbfcc4231                               // 000000002F50: 7E0202FF BFCC4231
	v_mov_b32_e32 v17, 0xffff0000                              // 000000002F58: 7E2202FF FFFF0000
	v_mov_b32_e32 v18, 0x7fff0000                              // 000000002F60: 7E2402FF 7FFF0000
	v_mov_b32_e32 v19, 0x7fff                                  // 000000002F68: 7E2602FF 00007FFF
	s_waitcnt vmcnt(0) expcnt(0) lgkmcnt(0)                    // 000000002F70: BF8C0000
	v_lshrrev_b32_e32 v4, 5, v0                                // 000000002F74: 20080085
	v_xor_b32_e32 v5, 1, v4                                    // 000000002F78: 2A0A0881
	v_readlane_b32 s82, v3, 0                                  // 000000002F7C: D2890052 00010103
	s_and_b32 s82, s82, 0xffffff                               // 000000002F84: 8652FF52 00FFFFFF
	v_mul_lo_u32 v6, v5, s82                                   // 000000002F8C: D2850006 0000A505
	v_readlane_b32 s82, v3, 1                                  // 000000002F94: D2890052 00010303
	s_and_b32 s82, s82, 0xffffff                               // 000000002F9C: 8652FF52 00FFFFFF
	v_mul_lo_u32 v7, v4, s82                                   // 000000002FA4: D2850007 0000A504
	v_add_u32_e32 v44, v6, v7                                  // 000000002FAC: 68580F06
	v_mul_lo_u32 v44, v44, s68                                 // 000000002FB0: D285002C 0000892C
	v_readlane_b32 s82, v3, 2                                  // 000000002FB8: D2890052 00010503
	s_and_b32 s82, s82, 0xffffff                               // 000000002FC0: 8652FF52 00FFFFFF
	v_mul_lo_u32 v6, v5, s82                                   // 000000002FC8: D2850006 0000A505
	v_readlane_b32 s82, v3, 3                                  // 000000002FD0: D2890052 00010703
	s_and_b32 s82, s82, 0xffffff                               // 000000002FD8: 8652FF52 00FFFFFF
	v_mul_lo_u32 v7, v4, s82                                   // 000000002FE0: D2850007 0000A504
	v_add_u32_e32 v45, v6, v7                                  // 000000002FE8: 685A0F06
	v_mul_lo_u32 v45, v45, s68                                 // 000000002FEC: D285002D 0000892D
	v_readlane_b32 s82, v3, 4                                  // 000000002FF4: D2890052 00010903
	s_and_b32 s82, s82, 0xffffff                               // 000000002FFC: 8652FF52 00FFFFFF
	v_mul_lo_u32 v6, v5, s82                                   // 000000003004: D2850006 0000A505
	v_readlane_b32 s82, v3, 5                                  // 00000000300C: D2890052 00010B03
	s_and_b32 s82, s82, 0xffffff                               // 000000003014: 8652FF52 00FFFFFF
	v_mul_lo_u32 v7, v4, s82                                   // 00000000301C: D2850007 0000A504
	v_add_u32_e32 v46, v6, v7                                  // 000000003024: 685C0F06
	v_mul_lo_u32 v46, v46, s68                                 // 000000003028: D285002E 0000892E
	v_readlane_b32 s82, v3, 6                                  // 000000003030: D2890052 00010D03
	s_and_b32 s82, s82, 0xffffff                               // 000000003038: 8652FF52 00FFFFFF
	v_mul_lo_u32 v6, v5, s82                                   // 000000003040: D2850006 0000A505
	v_readlane_b32 s82, v3, 7                                  // 000000003048: D2890052 00010F03
	s_and_b32 s82, s82, 0xffffff                               // 000000003050: 8652FF52 00FFFFFF
	v_mul_lo_u32 v7, v4, s82                                   // 000000003058: D2850007 0000A504
	v_add_u32_e32 v47, v6, v7                                  // 000000003060: 685E0F06
	v_mul_lo_u32 v47, v47, s68                                 // 000000003064: D285002F 0000892F
	v_readlane_b32 s82, v3, 8                                  // 00000000306C: D2890052 00011103
	s_and_b32 s82, s82, 0xffffff                               // 000000003074: 8652FF52 00FFFFFF
	v_mul_lo_u32 v6, v5, s82                                   // 00000000307C: D2850006 0000A505
	v_readlane_b32 s82, v3, 9                                  // 000000003084: D2890052 00011303
	s_and_b32 s82, s82, 0xffffff                               // 00000000308C: 8652FF52 00FFFFFF
	v_mul_lo_u32 v7, v4, s82                                   // 000000003094: D2850007 0000A504
	v_add_u32_e32 v48, v6, v7                                  // 00000000309C: 68600F06
	v_mul_lo_u32 v48, v48, s68                                 // 0000000030A0: D2850030 00008930
	v_readlane_b32 s82, v3, 10                                 // 0000000030A8: D2890052 00011503
	s_and_b32 s82, s82, 0xffffff                               // 0000000030B0: 8652FF52 00FFFFFF
	v_mul_lo_u32 v6, v5, s82                                   // 0000000030B8: D2850006 0000A505
	v_readlane_b32 s82, v3, 11                                 // 0000000030C0: D2890052 00011703
	s_and_b32 s82, s82, 0xffffff                               // 0000000030C8: 8652FF52 00FFFFFF
	v_mul_lo_u32 v7, v4, s82                                   // 0000000030D0: D2850007 0000A504
	v_add_u32_e32 v49, v6, v7                                  // 0000000030D8: 68620F06
	v_mul_lo_u32 v49, v49, s68                                 // 0000000030DC: D2850031 00008931
	v_readlane_b32 s82, v3, 12                                 // 0000000030E4: D2890052 00011903
	s_and_b32 s82, s82, 0xffffff                               // 0000000030EC: 8652FF52 00FFFFFF
	v_mul_lo_u32 v6, v5, s82                                   // 0000000030F4: D2850006 0000A505
	v_readlane_b32 s82, v3, 13                                 // 0000000030FC: D2890052 00011B03
	s_and_b32 s82, s82, 0xffffff                               // 000000003104: 8652FF52 00FFFFFF
	v_mul_lo_u32 v7, v4, s82                                   // 00000000310C: D2850007 0000A504
	v_add_u32_e32 v50, v6, v7                                  // 000000003114: 68640F06
	v_mul_lo_u32 v50, v50, s68                                 // 000000003118: D2850032 00008932
	v_readlane_b32 s82, v3, 14                                 // 000000003120: D2890052 00011D03
	s_and_b32 s82, s82, 0xffffff                               // 000000003128: 8652FF52 00FFFFFF
	v_mul_lo_u32 v6, v5, s82                                   // 000000003130: D2850006 0000A505
	v_readlane_b32 s82, v3, 15                                 // 000000003138: D2890052 00011F03
	s_and_b32 s82, s82, 0xffffff                               // 000000003140: 8652FF52 00FFFFFF
	v_mul_lo_u32 v7, v4, s82                                   // 000000003148: D2850007 0000A504
	v_add_u32_e32 v51, v6, v7                                  // 000000003150: 68660F06
	v_mul_lo_u32 v51, v51, s68                                 // 000000003154: D2850033 00008933
	v_and_b32_e32 v4, 31, v0                                   // 00000000315C: 2608009F
	v_lshlrev_b32_e32 v4, 2, v4                                // 000000003160: 24080882
	v_add_u32_e32 v44, v44, v4                                 // 000000003164: 6858092C
	v_add_u32_e32 v45, v45, v4                                 // 000000003168: 685A092D
	v_add_u32_e32 v46, v46, v4                                 // 00000000316C: 685C092E
	v_add_u32_e32 v47, v47, v4                                 // 000000003170: 685E092F
	v_add_u32_e32 v48, v48, v4                                 // 000000003174: 68600930
	v_add_u32_e32 v49, v49, v4                                 // 000000003178: 68620931
	v_add_u32_e32 v50, v50, v4                                 // 00000000317C: 68640932
	v_add_u32_e32 v51, v51, v4                                 // 000000003180: 68660933
	v_and_b32_e32 v28, 0xffffff, v28                           // 000000003184: 263838FF 00FFFFFF
	v_lshlrev_b32_e32 v28, 2, v28                              // 00000000318C: 24383882
	v_and_b32_e32 v29, 0xffffff, v29                           // 000000003190: 263A3AFF 00FFFFFF
	v_lshlrev_b32_e32 v29, 2, v29                              // 000000003198: 243A3A82
	v_and_b32_e32 v30, 0xffffff, v30                           // 00000000319C: 263C3CFF 00FFFFFF
	v_lshlrev_b32_e32 v30, 2, v30                              // 0000000031A4: 243C3C82
	v_and_b32_e32 v31, 0xffffff, v31                           // 0000000031A8: 263E3EFF 00FFFFFF
	v_lshlrev_b32_e32 v31, 2, v31                              // 0000000031B0: 243E3E82
	s_lshl_b32 s3, s66, 2                                      // 0000000031B4: 8E038242
	buffer_load_dword v32, v28, s[28:31], 0 offen              // 0000000031B8: E0501000 8007201C
	buffer_load_dword v33, v29, s[28:31], 0 offen              // 0000000031C0: E0501000 8007211D
	buffer_load_dword v34, v30, s[28:31], 0 offen              // 0000000031C8: E0501000 8007221E
	buffer_load_dword v35, v31, s[28:31], 0 offen              // 0000000031D0: E0501000 8007231F
	buffer_load_dword v24, v22, s[32:35], 0 offen              // 0000000031D8: E0501000 80081816
	s_mul_i32 s60, 4, s65                                      // 0000000031E0: 923C4184
	s_add_u32 s32, s60, s32                                    // 0000000031E4: 8020203C
	s_addc_u32 s33, 0, s33                                     // 0000000031E8: 82212180
	buffer_load_dword v26, v22, s[32:35], 0 offen              // 0000000031EC: E0501000 80081A16
	buffer_load_dword v44, s[20:23], 0 offen lds               // 0000000031F4: E0511000 8005002C
	s_add_u32 m0, 0x100, s48                                   // 0000000031FC: 807C30FF 00000100
	buffer_load_dword v45, s[20:23], 0 offen lds               // 000000003204: E0511000 8005002D
	s_add_u32 m0, 0x200, s48                                   // 00000000320C: 807C30FF 00000200
	buffer_load_dword v46, s[20:23], 0 offen lds               // 000000003214: E0511000 8005002E
	s_add_u32 m0, 0x300, s48                                   // 00000000321C: 807C30FF 00000300
	buffer_load_dword v47, s[20:23], 0 offen lds               // 000000003224: E0511000 8005002F
	s_add_u32 m0, 0x400, s48                                   // 00000000322C: 807C30FF 00000400
	buffer_load_dword v48, s[20:23], 0 offen lds               // 000000003234: E0511000 80050030
	s_add_u32 m0, 0x500, s48                                   // 00000000323C: 807C30FF 00000500
	buffer_load_dword v49, s[20:23], 0 offen lds               // 000000003244: E0511000 80050031
	s_add_u32 m0, 0x600, s48                                   // 00000000324C: 807C30FF 00000600
	buffer_load_dword v50, s[20:23], 0 offen lds               // 000000003254: E0511000 80050032
	s_add_u32 m0, 0x700, s48                                   // 00000000325C: 807C30FF 00000700
	buffer_load_dword v51, s[20:23], 0 offen lds               // 000000003264: E0511000 80050033
	s_add_u32 m0, 0, s49                                       // 00000000326C: 807C3180
	s_add_u32 s20, s57, s20                                    // 000000003270: 80141439
	s_addc_u32 s21, 0, s21                                     // 000000003274: 82151580
	buffer_load_dword v44, s[20:23], 0 offen lds               // 000000003278: E0511000 8005002C
	s_add_u32 m0, 0x100, s49                                   // 000000003280: 807C31FF 00000100
	buffer_load_dword v45, s[20:23], 0 offen lds               // 000000003288: E0511000 8005002D
	s_add_u32 m0, 0x200, s49                                   // 000000003290: 807C31FF 00000200
	buffer_load_dword v46, s[20:23], 0 offen lds               // 000000003298: E0511000 8005002E
	s_add_u32 m0, 0x300, s49                                   // 0000000032A0: 807C31FF 00000300
	buffer_load_dword v47, s[20:23], 0 offen lds               // 0000000032A8: E0511000 8005002F
	s_add_u32 m0, 0x400, s49                                   // 0000000032B0: 807C31FF 00000400
	buffer_load_dword v48, s[20:23], 0 offen lds               // 0000000032B8: E0511000 80050030
	s_add_u32 m0, 0x500, s49                                   // 0000000032C0: 807C31FF 00000500
	buffer_load_dword v49, s[20:23], 0 offen lds               // 0000000032C8: E0511000 80050031
	s_add_u32 m0, 0x600, s49                                   // 0000000032D0: 807C31FF 00000600
	buffer_load_dword v50, s[20:23], 0 offen lds               // 0000000032D8: E0511000 80050032
	s_add_u32 m0, 0x700, s49                                   // 0000000032E0: 807C31FF 00000700
	buffer_load_dword v51, s[20:23], 0 offen lds               // 0000000032E8: E0511000 80050033
	s_add_u32 m0, 0, s48                                       // 0000000032F0: 807C3080
	s_add_u32 s20, s57, s20                                    // 0000000032F4: 80141439
	s_addc_u32 s21, 0, s21                                     // 0000000032F8: 82151580
	buffer_load_dwordx4 a[64:67], v52, s[24:27], 0 offen       // 0000000032FC: E05C1000 80864034
	buffer_load_dwordx4 a[68:71], v52, s[24:27], 0 offen offset:1024// 000000003304: E05C1400 80864434
	buffer_load_dwordx4 a[72:75], v53, s[24:27], 0 offen       // 00000000330C: E05C1000 80864835
	buffer_load_dwordx4 a[76:79], v53, s[24:27], 0 offen offset:1024// 000000003314: E05C1400 80864C35
	s_add_u32 s24, s58, s24                                    // 00000000331C: 8018183A
	s_addc_u32 s25, 0, s25                                     // 000000003320: 82191980
	s_waitcnt vmcnt(12)                                        // 000000003324: BF8C0F7C
	s_barrier                                                  // 000000003328: BF8A0000
	ds_read_b128 a[0:3], v2                                    // 00000000332C: DBFE0000 00000002
	ds_read_b128 a[4:7], v2 offset:64                          // 000000003334: DBFE0040 04000002
	ds_read_b128 a[8:11], v2 offset:512                        // 00000000333C: DBFE0200 08000002
	ds_read_b128 a[12:15], v2 offset:576                       // 000000003344: DBFE0240 0C000002
	ds_read_b128 a[16:19], v2 offset:1024                      // 00000000334C: DBFE0400 10000002
	ds_read_b128 a[20:23], v2 offset:1088                      // 000000003354: DBFE0440 14000002
	ds_read_b128 a[24:27], v2 offset:1536                      // 00000000335C: DBFE0600 18000002
	ds_read_b128 a[28:31], v2 offset:1600                      // 000000003364: DBFE0640 1C000002
	s_cmp_lt_i32 s7, 2                                         // 00000000336C: BF048207
	s_cbranch_scc0 label_0DF6                                  // 000000003370: BF840B96

0000000000003374 <label_025D>:
	s_waitcnt vmcnt(2) lgkmcnt(0)                              // 000000003374: BF8C0072
	s_barrier                                                  // 000000003378: BF8A0000
	v_mfma_i32_16x16x32_i8 v[56:59], a[64:65], a[0:1], v[56:59]// 00000000337C: D3D70038 1CE20140
	v_mfma_i32_16x16x32_i8 v[56:59], a[66:67], a[2:3], v[56:59]// 000000003384: D3D70038 1CE20542
	buffer_load_dwordx4 a[80:83], v52, s[84:87], 0 offen       // 00000000338C: E05C1000 80955034
	v_mfma_i32_16x16x32_i8 v[56:59], a[68:69], a[4:5], v[56:59]// 000000003394: D3D70038 1CE20944
	v_mfma_i32_16x16x32_i8 v[56:59], a[70:71], a[6:7], v[56:59]// 00000000339C: D3D70038 1CE20D46
	v_mfma_i32_16x16x32_i8 v[60:63], a[64:65], a[8:9], v[60:63]// 0000000033A4: D3D7003C 1CF21140
	v_mfma_i32_16x16x32_i8 v[60:63], a[66:67], a[10:11], v[60:63]// 0000000033AC: D3D7003C 1CF21542
	buffer_load_dwordx4 a[84:87], v52, s[84:87], 0 offen offset:1024// 0000000033B4: E05C1400 80955434
	v_mfma_i32_16x16x32_i8 v[60:63], a[68:69], a[12:13], v[60:63]// 0000000033BC: D3D7003C 1CF21944
	v_mfma_i32_16x16x32_i8 v[60:63], a[70:71], a[14:15], v[60:63]// 0000000033C4: D3D7003C 1CF21D46
	v_mfma_i32_16x16x32_i8 v[64:67], a[64:65], a[16:17], v[64:67]// 0000000033CC: D3D70040 1D022140
	v_mfma_i32_16x16x32_i8 v[64:67], a[66:67], a[18:19], v[64:67]// 0000000033D4: D3D70040 1D022542
	buffer_load_dwordx4 a[88:91], v53, s[84:87], 0 offen       // 0000000033DC: E05C1000 80955835
	v_mfma_i32_16x16x32_i8 v[64:67], a[68:69], a[20:21], v[64:67]// 0000000033E4: D3D70040 1D022944
	v_mfma_i32_16x16x32_i8 v[64:67], a[70:71], a[22:23], v[64:67]// 0000000033EC: D3D70040 1D022D46
	v_mfma_i32_16x16x32_i8 v[68:71], a[64:65], a[24:25], v[68:71]// 0000000033F4: D3D70044 1D123140
	v_mfma_i32_16x16x32_i8 v[68:71], a[66:67], a[26:27], v[68:71]// 0000000033FC: D3D70044 1D123542
	buffer_load_dwordx4 a[92:95], v53, s[84:87], 0 offen offset:1024// 000000003404: E05C1400 80955C35
	buffer_load_dword v44, s[20:23], 0 offen lds               // 00000000340C: E0511000 8005002C
	s_add_u32 m0, 0x100, s48                                   // 000000003414: 807C30FF 00000100
	v_mfma_i32_16x16x32_i8 v[68:71], a[68:69], a[28:29], v[68:71]// 00000000341C: D3D70044 1D123944
	v_mfma_i32_16x16x32_i8 v[68:71], a[70:71], a[30:31], v[68:71]// 000000003424: D3D70044 1D123D46
	buffer_load_dword v45, s[20:23], 0 offen lds               // 00000000342C: E0511000 8005002D
	s_add_u32 m0, 0x200, s48                                   // 000000003434: 807C30FF 00000200
	s_waitcnt vmcnt(6)                                         // 00000000343C: BF8C0F76
	v_mfma_i32_16x16x32_i8 v[72:75], a[72:73], a[0:1], v[72:75]// 000000003440: D3D70048 1D220148
	v_mfma_i32_16x16x32_i8 v[72:75], a[74:75], a[2:3], v[72:75]// 000000003448: D3D70048 1D22054A
	buffer_load_dword v46, s[20:23], 0 offen lds               // 000000003450: E0511000 8005002E
	s_add_u32 m0, 0x300, s48                                   // 000000003458: 807C30FF 00000300
	v_mfma_i32_16x16x32_i8 v[72:75], a[76:77], a[4:5], v[72:75]// 000000003460: D3D70048 1D22094C
	v_mfma_i32_16x16x32_i8 v[72:75], a[78:79], a[6:7], v[72:75]// 000000003468: D3D70048 1D220D4E
	buffer_load_dword v47, s[20:23], 0 offen lds               // 000000003470: E0511000 8005002F
	s_add_u32 m0, 0x400, s48                                   // 000000003478: 807C30FF 00000400
	v_mfma_i32_16x16x32_i8 v[76:79], a[72:73], a[8:9], v[76:79]// 000000003480: D3D7004C 1D321148
	v_mfma_i32_16x16x32_i8 v[76:79], a[74:75], a[10:11], v[76:79]// 000000003488: D3D7004C 1D32154A
	buffer_load_dword v48, s[20:23], 0 offen lds               // 000000003490: E0511000 80050030
	s_add_u32 m0, 0x500, s48                                   // 000000003498: 807C30FF 00000500
	v_mfma_i32_16x16x32_i8 v[76:79], a[76:77], a[12:13], v[76:79]// 0000000034A0: D3D7004C 1D32194C
	v_mfma_i32_16x16x32_i8 v[76:79], a[78:79], a[14:15], v[76:79]// 0000000034A8: D3D7004C 1D321D4E
	buffer_load_dword v49, s[20:23], 0 offen lds               // 0000000034B0: E0511000 80050031
	s_add_u32 m0, 0x600, s48                                   // 0000000034B8: 807C30FF 00000600
	v_mfma_i32_16x16x32_i8 v[80:83], a[72:73], a[16:17], v[80:83]// 0000000034C0: D3D70050 1D422148
	v_mfma_i32_16x16x32_i8 v[80:83], a[74:75], a[18:19], v[80:83]// 0000000034C8: D3D70050 1D42254A
	buffer_load_dword v50, s[20:23], 0 offen lds               // 0000000034D0: E0511000 80050032
	s_add_u32 m0, 0x700, s48                                   // 0000000034D8: 807C30FF 00000700
	v_mfma_i32_16x16x32_i8 v[80:83], a[76:77], a[20:21], v[80:83]// 0000000034E0: D3D70050 1D42294C
	v_mfma_i32_16x16x32_i8 v[80:83], a[78:79], a[22:23], v[80:83]// 0000000034E8: D3D70050 1D422D4E
	buffer_load_dword v51, s[20:23], 0 offen lds               // 0000000034F0: E0511000 80050033
	s_add_u32 m0, 0, s49                                       // 0000000034F8: 807C3180
	v_mfma_i32_16x16x32_i8 v[84:87], a[72:73], a[24:25], v[84:87]// 0000000034FC: D3D70054 1D523148
	v_mfma_i32_16x16x32_i8 v[84:87], a[74:75], a[26:27], v[84:87]// 000000003504: D3D70054 1D52354A
	s_add_u32 s60, 0x80, s80                                   // 00000000350C: 803C50FF 00000080
	s_cmp_lt_u32 s60, s81                                      // 000000003514: BF0A513C
	s_cselect_b32 s83, s83, 0                                  // 000000003518: 85538053
	v_mfma_i32_16x16x32_i8 v[84:87], a[76:77], a[28:29], v[84:87]// 00000000351C: D3D70054 1D52394C
	v_mfma_i32_16x16x32_i8 v[84:87], a[78:79], a[30:31], v[84:87]// 000000003524: D3D70054 1D523D4E
	s_waitcnt vmcnt(8)                                         // 00000000352C: BF8C0F78
	v_mfma_i32_16x16x32_i8 v[88:91], a[80:81], a[0:1], v[88:91]// 000000003530: D3D70058 1D620150
	v_mfma_i32_16x16x32_i8 v[88:91], a[82:83], a[2:3], v[88:91]// 000000003538: D3D70058 1D620552
	buffer_load_dwordx4 a[64:67], v52, s[24:27], 0 offen       // 000000003540: E05C1000 80864034
	v_mfma_i32_16x16x32_i8 v[88:91], a[84:85], a[4:5], v[88:91]// 000000003548: D3D70058 1D620954
	v_mfma_i32_16x16x32_i8 v[88:91], a[86:87], a[6:7], v[88:91]// 000000003550: D3D70058 1D620D56
	ds_read_b128 a[32:35], v2 offset:8320                      // 000000003558: DBFE2080 20000002
	ds_read_b128 a[36:39], v2 offset:8384                      // 000000003560: DBFE20C0 24000002
	v_mfma_i32_16x16x32_i8 v[104:107], a[88:89], a[0:1], v[104:107]// 000000003568: D3D70068 1DA20158
	v_mfma_i32_16x16x32_i8 v[104:107], a[90:91], a[2:3], v[104:107]// 000000003570: D3D70068 1DA2055A
	buffer_load_dwordx4 a[68:71], v52, s[24:27], 0 offen offset:1024// 000000003578: E05C1400 80864434
	v_mfma_i32_16x16x32_i8 v[104:107], a[92:93], a[4:5], v[104:107]// 000000003580: D3D70068 1DA2095C
	v_mfma_i32_16x16x32_i8 v[104:107], a[94:95], a[6:7], v[104:107]// 000000003588: D3D70068 1DA20D5E
	ds_read_b128 a[40:43], v2 offset:8832                      // 000000003590: DBFE2280 28000002
	ds_read_b128 a[44:47], v2 offset:8896                      // 000000003598: DBFE22C0 2C000002
	v_mfma_i32_16x16x32_i8 v[92:95], a[80:81], a[8:9], v[92:95]// 0000000035A0: D3D7005C 1D721150
	v_mfma_i32_16x16x32_i8 v[92:95], a[82:83], a[10:11], v[92:95]// 0000000035A8: D3D7005C 1D721552
	buffer_load_dwordx4 a[72:75], v53, s[24:27], 0 offen       // 0000000035B0: E05C1000 80864835
	v_mfma_i32_16x16x32_i8 v[92:95], a[84:85], a[12:13], v[92:95]// 0000000035B8: D3D7005C 1D721954
	v_mfma_i32_16x16x32_i8 v[92:95], a[86:87], a[14:15], v[92:95]// 0000000035C0: D3D7005C 1D721D56
	ds_read_b128 a[48:51], v2 offset:9344                      // 0000000035C8: DBFE2480 30000002
	ds_read_b128 a[52:55], v2 offset:9408                      // 0000000035D0: DBFE24C0 34000002
	v_mfma_i32_16x16x32_i8 v[108:111], a[88:89], a[8:9], v[108:111]// 0000000035D8: D3D7006C 1DB21158
	v_mfma_i32_16x16x32_i8 v[108:111], a[90:91], a[10:11], v[108:111]// 0000000035E0: D3D7006C 1DB2155A
	buffer_load_dwordx4 a[76:79], v53, s[24:27], 0 offen offset:1024// 0000000035E8: E05C1400 80864C35
	v_mfma_i32_16x16x32_i8 v[108:111], a[92:93], a[12:13], v[108:111]// 0000000035F0: D3D7006C 1DB2195C
	v_mfma_i32_16x16x32_i8 v[108:111], a[94:95], a[14:15], v[108:111]// 0000000035F8: D3D7006C 1DB21D5E
	ds_read_b128 a[56:59], v2 offset:9856                      // 000000003600: DBFE2680 38000002
	ds_read_b128 a[60:63], v2 offset:9920                      // 000000003608: DBFE26C0 3C000002
	v_mfma_i32_16x16x32_i8 v[96:99], a[80:81], a[16:17], v[96:99]// 000000003610: D3D70060 1D822150
	v_mfma_i32_16x16x32_i8 v[96:99], a[82:83], a[18:19], v[96:99]// 000000003618: D3D70060 1D822552
	v_mfma_i32_16x16x32_i8 v[96:99], a[84:85], a[20:21], v[96:99]// 000000003620: D3D70060 1D822954
	v_mfma_i32_16x16x32_i8 v[96:99], a[86:87], a[22:23], v[96:99]// 000000003628: D3D70060 1D822D56
	v_mfma_i32_16x16x32_i8 v[112:115], a[88:89], a[16:17], v[112:115]// 000000003630: D3D70070 1DC22158
	v_mfma_i32_16x16x32_i8 v[112:115], a[90:91], a[18:19], v[112:115]// 000000003638: D3D70070 1DC2255A
	v_mfma_i32_16x16x32_i8 v[112:115], a[92:93], a[20:21], v[112:115]// 000000003640: D3D70070 1DC2295C
	v_mfma_i32_16x16x32_i8 v[112:115], a[94:95], a[22:23], v[112:115]// 000000003648: D3D70070 1DC22D5E
	v_mfma_i32_16x16x32_i8 v[100:103], a[80:81], a[24:25], v[100:103]// 000000003650: D3D70064 1D923150
	v_mfma_i32_16x16x32_i8 v[100:103], a[82:83], a[26:27], v[100:103]// 000000003658: D3D70064 1D923552
	v_mfma_i32_16x16x32_i8 v[100:103], a[84:85], a[28:29], v[100:103]// 000000003660: D3D70064 1D923954
	s_add_u32 s60, 0x180, s80                                  // 000000003668: 803C50FF 00000180
	s_cmp_lt_u32 s60, s81                                      // 000000003670: BF0A513C
	s_cselect_b32 s57, s57, 0                                  // 000000003674: 85398039
	v_mfma_i32_16x16x32_i8 v[100:103], a[86:87], a[30:31], v[100:103]// 000000003678: D3D70064 1D923D56
	s_add_u32 s60, 0x100, s80                                  // 000000003680: 803C50FF 00000100
	s_cmp_lt_u32 s60, s81                                      // 000000003688: BF0A513C
	s_cselect_b32 s58, s58, 0                                  // 00000000368C: 853A803A
	v_mfma_i32_16x16x32_i8 v[116:119], a[88:89], a[24:25], v[116:119]// 000000003690: D3D70074 1DD23158
	s_add_u32 s24, s58, s24                                    // 000000003698: 8018183A
	s_addc_u32 s25, 0, s25                                     // 00000000369C: 82191980
	v_mfma_i32_16x16x32_i8 v[116:119], a[90:91], a[26:27], v[116:119]// 0000000036A0: D3D70074 1DD2355A
	s_add_u32 s20, s57, s20                                    // 0000000036A8: 80141439
	s_addc_u32 s21, 0, s21                                     // 0000000036AC: 82151580
	v_mfma_i32_16x16x32_i8 v[116:119], a[92:93], a[28:29], v[116:119]// 0000000036B0: D3D70074 1DD2395C
	s_add_u32 s84, s83, s84                                    // 0000000036B8: 80545453
	s_addc_u32 s85, 0, s85                                     // 0000000036BC: 82555580
	v_mfma_i32_16x16x32_i8 v[116:119], a[94:95], a[30:31], v[116:119]// 0000000036C0: D3D70074 1DD23D5E
	s_addk_i32 s80, 0x80                                       // 0000000036C8: B7500080
	s_cmp_lt_i32 s80, s81                                      // 0000000036CC: BF045150
	s_cbranch_scc0 label_040E                                  // 0000000036D0: BF8400D9
	s_waitcnt vmcnt(2) lgkmcnt(0)                              // 0000000036D4: BF8C0072
	s_barrier                                                  // 0000000036D8: BF8A0000
	v_mfma_i32_16x16x32_i8 v[56:59], a[64:65], a[32:33], v[56:59]// 0000000036DC: D3D70038 1CE24140
	v_mfma_i32_16x16x32_i8 v[56:59], a[66:67], a[34:35], v[56:59]// 0000000036E4: D3D70038 1CE24542
	buffer_load_dwordx4 a[80:83], v52, s[84:87], 0 offen       // 0000000036EC: E05C1000 80955034
	v_mfma_i32_16x16x32_i8 v[56:59], a[68:69], a[36:37], v[56:59]// 0000000036F4: D3D70038 1CE24944
	v_mfma_i32_16x16x32_i8 v[56:59], a[70:71], a[38:39], v[56:59]// 0000000036FC: D3D70038 1CE24D46
	v_mfma_i32_16x16x32_i8 v[60:63], a[64:65], a[40:41], v[60:63]// 000000003704: D3D7003C 1CF25140
	v_mfma_i32_16x16x32_i8 v[60:63], a[66:67], a[42:43], v[60:63]// 00000000370C: D3D7003C 1CF25542
	buffer_load_dwordx4 a[84:87], v52, s[84:87], 0 offen offset:1024// 000000003714: E05C1400 80955434
	v_mfma_i32_16x16x32_i8 v[60:63], a[68:69], a[44:45], v[60:63]// 00000000371C: D3D7003C 1CF25944
	v_mfma_i32_16x16x32_i8 v[60:63], a[70:71], a[46:47], v[60:63]// 000000003724: D3D7003C 1CF25D46
	v_mfma_i32_16x16x32_i8 v[64:67], a[64:65], a[48:49], v[64:67]// 00000000372C: D3D70040 1D026140
	v_mfma_i32_16x16x32_i8 v[64:67], a[66:67], a[50:51], v[64:67]// 000000003734: D3D70040 1D026542
	buffer_load_dwordx4 a[88:91], v53, s[84:87], 0 offen       // 00000000373C: E05C1000 80955835
	v_mfma_i32_16x16x32_i8 v[64:67], a[68:69], a[52:53], v[64:67]// 000000003744: D3D70040 1D026944
	v_mfma_i32_16x16x32_i8 v[64:67], a[70:71], a[54:55], v[64:67]// 00000000374C: D3D70040 1D026D46
	v_mfma_i32_16x16x32_i8 v[68:71], a[64:65], a[56:57], v[68:71]// 000000003754: D3D70044 1D127140
	v_mfma_i32_16x16x32_i8 v[68:71], a[66:67], a[58:59], v[68:71]// 00000000375C: D3D70044 1D127542
	buffer_load_dwordx4 a[92:95], v53, s[84:87], 0 offen offset:1024// 000000003764: E05C1400 80955C35
	buffer_load_dword v44, s[20:23], 0 offen lds               // 00000000376C: E0511000 8005002C
	s_add_u32 m0, 0x100, s49                                   // 000000003774: 807C31FF 00000100
	v_mfma_i32_16x16x32_i8 v[68:71], a[68:69], a[60:61], v[68:71]// 00000000377C: D3D70044 1D127944
	v_mfma_i32_16x16x32_i8 v[68:71], a[70:71], a[62:63], v[68:71]// 000000003784: D3D70044 1D127D46
	buffer_load_dword v45, s[20:23], 0 offen lds               // 00000000378C: E0511000 8005002D
	s_add_u32 m0, 0x200, s49                                   // 000000003794: 807C31FF 00000200
	s_waitcnt vmcnt(6)                                         // 00000000379C: BF8C0F76
	v_mfma_i32_16x16x32_i8 v[72:75], a[72:73], a[32:33], v[72:75]// 0000000037A0: D3D70048 1D224148
	v_mfma_i32_16x16x32_i8 v[72:75], a[74:75], a[34:35], v[72:75]// 0000000037A8: D3D70048 1D22454A
	buffer_load_dword v46, s[20:23], 0 offen lds               // 0000000037B0: E0511000 8005002E
	s_add_u32 m0, 0x300, s49                                   // 0000000037B8: 807C31FF 00000300
	v_mfma_i32_16x16x32_i8 v[72:75], a[76:77], a[36:37], v[72:75]// 0000000037C0: D3D70048 1D22494C
	v_mfma_i32_16x16x32_i8 v[72:75], a[78:79], a[38:39], v[72:75]// 0000000037C8: D3D70048 1D224D4E
	buffer_load_dword v47, s[20:23], 0 offen lds               // 0000000037D0: E0511000 8005002F
	s_add_u32 m0, 0x400, s49                                   // 0000000037D8: 807C31FF 00000400
	v_mfma_i32_16x16x32_i8 v[76:79], a[72:73], a[40:41], v[76:79]// 0000000037E0: D3D7004C 1D325148
	v_mfma_i32_16x16x32_i8 v[76:79], a[74:75], a[42:43], v[76:79]// 0000000037E8: D3D7004C 1D32554A
	buffer_load_dword v48, s[20:23], 0 offen lds               // 0000000037F0: E0511000 80050030
	s_add_u32 m0, 0x500, s49                                   // 0000000037F8: 807C31FF 00000500
	v_mfma_i32_16x16x32_i8 v[76:79], a[76:77], a[44:45], v[76:79]// 000000003800: D3D7004C 1D32594C
	v_mfma_i32_16x16x32_i8 v[76:79], a[78:79], a[46:47], v[76:79]// 000000003808: D3D7004C 1D325D4E
	buffer_load_dword v49, s[20:23], 0 offen lds               // 000000003810: E0511000 80050031
	s_add_u32 m0, 0x600, s49                                   // 000000003818: 807C31FF 00000600
	v_mfma_i32_16x16x32_i8 v[80:83], a[72:73], a[48:49], v[80:83]// 000000003820: D3D70050 1D426148
	v_mfma_i32_16x16x32_i8 v[80:83], a[74:75], a[50:51], v[80:83]// 000000003828: D3D70050 1D42654A
	buffer_load_dword v50, s[20:23], 0 offen lds               // 000000003830: E0511000 80050032
	s_add_u32 m0, 0x700, s49                                   // 000000003838: 807C31FF 00000700
	v_mfma_i32_16x16x32_i8 v[80:83], a[76:77], a[52:53], v[80:83]// 000000003840: D3D70050 1D42694C
	v_mfma_i32_16x16x32_i8 v[80:83], a[78:79], a[54:55], v[80:83]// 000000003848: D3D70050 1D426D4E
	buffer_load_dword v51, s[20:23], 0 offen lds               // 000000003850: E0511000 80050033
	s_add_u32 m0, 0, s48                                       // 000000003858: 807C3080
	v_mfma_i32_16x16x32_i8 v[84:87], a[72:73], a[56:57], v[84:87]// 00000000385C: D3D70054 1D527148
	v_mfma_i32_16x16x32_i8 v[84:87], a[74:75], a[58:59], v[84:87]// 000000003864: D3D70054 1D52754A
	s_add_u32 s60, 0x80, s80                                   // 00000000386C: 803C50FF 00000080
	s_cmp_lt_u32 s60, s81                                      // 000000003874: BF0A513C
	s_cselect_b32 s83, s83, 0                                  // 000000003878: 85538053
	v_mfma_i32_16x16x32_i8 v[84:87], a[76:77], a[60:61], v[84:87]// 00000000387C: D3D70054 1D52794C
	v_mfma_i32_16x16x32_i8 v[84:87], a[78:79], a[62:63], v[84:87]// 000000003884: D3D70054 1D527D4E
	s_waitcnt vmcnt(8)                                         // 00000000388C: BF8C0F78
	v_mfma_i32_16x16x32_i8 v[88:91], a[80:81], a[32:33], v[88:91]// 000000003890: D3D70058 1D624150
	v_mfma_i32_16x16x32_i8 v[88:91], a[82:83], a[34:35], v[88:91]// 000000003898: D3D70058 1D624552
	buffer_load_dwordx4 a[64:67], v52, s[24:27], 0 offen       // 0000000038A0: E05C1000 80864034
	v_mfma_i32_16x16x32_i8 v[88:91], a[84:85], a[36:37], v[88:91]// 0000000038A8: D3D70058 1D624954
	v_mfma_i32_16x16x32_i8 v[88:91], a[86:87], a[38:39], v[88:91]// 0000000038B0: D3D70058 1D624D56
	ds_read_b128 a[0:3], v2                                    // 0000000038B8: DBFE0000 00000002
	ds_read_b128 a[4:7], v2 offset:64                          // 0000000038C0: DBFE0040 04000002
	v_mfma_i32_16x16x32_i8 v[104:107], a[88:89], a[32:33], v[104:107]// 0000000038C8: D3D70068 1DA24158
	v_mfma_i32_16x16x32_i8 v[104:107], a[90:91], a[34:35], v[104:107]// 0000000038D0: D3D70068 1DA2455A
	buffer_load_dwordx4 a[68:71], v52, s[24:27], 0 offen offset:1024// 0000000038D8: E05C1400 80864434
	v_mfma_i32_16x16x32_i8 v[104:107], a[92:93], a[36:37], v[104:107]// 0000000038E0: D3D70068 1DA2495C
	v_mfma_i32_16x16x32_i8 v[104:107], a[94:95], a[38:39], v[104:107]// 0000000038E8: D3D70068 1DA24D5E
	ds_read_b128 a[8:11], v2 offset:512                        // 0000000038F0: DBFE0200 08000002
	ds_read_b128 a[12:15], v2 offset:576                       // 0000000038F8: DBFE0240 0C000002
	v_mfma_i32_16x16x32_i8 v[92:95], a[80:81], a[40:41], v[92:95]// 000000003900: D3D7005C 1D725150
	v_mfma_i32_16x16x32_i8 v[92:95], a[82:83], a[42:43], v[92:95]// 000000003908: D3D7005C 1D725552
	buffer_load_dwordx4 a[72:75], v53, s[24:27], 0 offen       // 000000003910: E05C1000 80864835
	v_mfma_i32_16x16x32_i8 v[92:95], a[84:85], a[44:45], v[92:95]// 000000003918: D3D7005C 1D725954
	v_mfma_i32_16x16x32_i8 v[92:95], a[86:87], a[46:47], v[92:95]// 000000003920: D3D7005C 1D725D56
	ds_read_b128 a[16:19], v2 offset:1024                      // 000000003928: DBFE0400 10000002
	ds_read_b128 a[20:23], v2 offset:1088                      // 000000003930: DBFE0440 14000002
	v_mfma_i32_16x16x32_i8 v[108:111], a[88:89], a[40:41], v[108:111]// 000000003938: D3D7006C 1DB25158
	v_mfma_i32_16x16x32_i8 v[108:111], a[90:91], a[42:43], v[108:111]// 000000003940: D3D7006C 1DB2555A
	buffer_load_dwordx4 a[76:79], v53, s[24:27], 0 offen offset:1024// 000000003948: E05C1400 80864C35
	v_mfma_i32_16x16x32_i8 v[108:111], a[92:93], a[44:45], v[108:111]// 000000003950: D3D7006C 1DB2595C
	v_mfma_i32_16x16x32_i8 v[108:111], a[94:95], a[46:47], v[108:111]// 000000003958: D3D7006C 1DB25D5E
	ds_read_b128 a[24:27], v2 offset:1536                      // 000000003960: DBFE0600 18000002
	ds_read_b128 a[28:31], v2 offset:1600                      // 000000003968: DBFE0640 1C000002
	v_mfma_i32_16x16x32_i8 v[96:99], a[80:81], a[48:49], v[96:99]// 000000003970: D3D70060 1D826150
	v_mfma_i32_16x16x32_i8 v[96:99], a[82:83], a[50:51], v[96:99]// 000000003978: D3D70060 1D826552
	v_mfma_i32_16x16x32_i8 v[96:99], a[84:85], a[52:53], v[96:99]// 000000003980: D3D70060 1D826954
	v_mfma_i32_16x16x32_i8 v[96:99], a[86:87], a[54:55], v[96:99]// 000000003988: D3D70060 1D826D56
	v_mfma_i32_16x16x32_i8 v[112:115], a[88:89], a[48:49], v[112:115]// 000000003990: D3D70070 1DC26158
	v_mfma_i32_16x16x32_i8 v[112:115], a[90:91], a[50:51], v[112:115]// 000000003998: D3D70070 1DC2655A
	v_mfma_i32_16x16x32_i8 v[112:115], a[92:93], a[52:53], v[112:115]// 0000000039A0: D3D70070 1DC2695C
	v_mfma_i32_16x16x32_i8 v[112:115], a[94:95], a[54:55], v[112:115]// 0000000039A8: D3D70070 1DC26D5E
	v_mfma_i32_16x16x32_i8 v[100:103], a[80:81], a[56:57], v[100:103]// 0000000039B0: D3D70064 1D927150
	v_mfma_i32_16x16x32_i8 v[100:103], a[82:83], a[58:59], v[100:103]// 0000000039B8: D3D70064 1D927552
	v_mfma_i32_16x16x32_i8 v[100:103], a[84:85], a[60:61], v[100:103]// 0000000039C0: D3D70064 1D927954
	s_add_u32 s60, 0x180, s80                                  // 0000000039C8: 803C50FF 00000180
	s_cmp_lt_u32 s60, s81                                      // 0000000039D0: BF0A513C
	s_cselect_b32 s57, s57, 0                                  // 0000000039D4: 85398039
	v_mfma_i32_16x16x32_i8 v[100:103], a[86:87], a[62:63], v[100:103]// 0000000039D8: D3D70064 1D927D56
	s_add_u32 s60, 0x100, s80                                  // 0000000039E0: 803C50FF 00000100
	s_cmp_lt_u32 s60, s81                                      // 0000000039E8: BF0A513C
	s_cselect_b32 s58, s58, 0                                  // 0000000039EC: 853A803A
	v_mfma_i32_16x16x32_i8 v[116:119], a[88:89], a[56:57], v[116:119]// 0000000039F0: D3D70074 1DD27158
	s_add_u32 s24, s58, s24                                    // 0000000039F8: 8018183A
	s_addc_u32 s25, 0, s25                                     // 0000000039FC: 82191980
	v_mfma_i32_16x16x32_i8 v[116:119], a[90:91], a[58:59], v[116:119]// 000000003A00: D3D70074 1DD2755A
	s_add_u32 s20, s57, s20                                    // 000000003A08: 80141439
	s_addc_u32 s21, 0, s21                                     // 000000003A0C: 82151580
	v_mfma_i32_16x16x32_i8 v[116:119], a[92:93], a[60:61], v[116:119]// 000000003A10: D3D70074 1DD2795C
	s_add_u32 s84, s83, s84                                    // 000000003A18: 80545453
	s_addc_u32 s85, 0, s85                                     // 000000003A1C: 82555580
	v_mfma_i32_16x16x32_i8 v[116:119], a[94:95], a[62:63], v[116:119]// 000000003A20: D3D70074 1DD27D5E
	s_addk_i32 s80, 0x80                                       // 000000003A28: B7500080
	s_cmp_lt_i32 s80, s81                                      // 000000003A2C: BF045150
	s_cbranch_scc0 label_040E                                  // 000000003A30: BF840001
	s_branch label_025D                                        // 000000003A34: BF82FE4F

0000000000003a38 <label_040E>:
	v_cvt_f32_i32_e32 v56, v56                                 // 000000003A38: 7E700B38
	v_cvt_f32_i32_e32 v57, v57                                 // 000000003A3C: 7E720B39
	v_cvt_f32_i32_e32 v58, v58                                 // 000000003A40: 7E740B3A
	v_cvt_f32_i32_e32 v59, v59                                 // 000000003A44: 7E760B3B
	v_mul_f32_dpp v56, v24, v56 row_newbcast:0 row_mask:0xf bank_mask:0xf// 000000003A48: 0A7070FA FF015018
	v_mul_f32_dpp v57, v24, v57 row_newbcast:1 row_mask:0xf bank_mask:0xf// 000000003A50: 0A7272FA FF015118
	v_mul_f32_dpp v58, v24, v58 row_newbcast:2 row_mask:0xf bank_mask:0xf// 000000003A58: 0A7474FA FF015218
	v_mul_f32_dpp v59, v24, v59 row_newbcast:3 row_mask:0xf bank_mask:0xf// 000000003A60: 0A7676FA FF015318
	v_cvt_f32_i32_e32 v60, v60                                 // 000000003A68: 7E780B3C
	v_cvt_f32_i32_e32 v61, v61                                 // 000000003A6C: 7E7A0B3D
	v_cvt_f32_i32_e32 v62, v62                                 // 000000003A70: 7E7C0B3E
	v_cvt_f32_i32_e32 v63, v63                                 // 000000003A74: 7E7E0B3F
	v_mul_f32_dpp v60, v24, v60 row_newbcast:0 row_mask:0xf bank_mask:0xf// 000000003A78: 0A7878FA FF015018
	v_mul_f32_dpp v61, v24, v61 row_newbcast:1 row_mask:0xf bank_mask:0xf// 000000003A80: 0A7A7AFA FF015118
	v_mul_f32_dpp v62, v24, v62 row_newbcast:2 row_mask:0xf bank_mask:0xf// 000000003A88: 0A7C7CFA FF015218
	v_mul_f32_dpp v63, v24, v63 row_newbcast:3 row_mask:0xf bank_mask:0xf// 000000003A90: 0A7E7EFA FF015318
	v_cvt_f32_i32_e32 v64, v64                                 // 000000003A98: 7E800B40
	v_cvt_f32_i32_e32 v65, v65                                 // 000000003A9C: 7E820B41
	v_cvt_f32_i32_e32 v66, v66                                 // 000000003AA0: 7E840B42
	v_cvt_f32_i32_e32 v67, v67                                 // 000000003AA4: 7E860B43
	v_mul_f32_dpp v64, v24, v64 row_newbcast:0 row_mask:0xf bank_mask:0xf// 000000003AA8: 0A8080FA FF015018
	v_mul_f32_dpp v65, v24, v65 row_newbcast:1 row_mask:0xf bank_mask:0xf// 000000003AB0: 0A8282FA FF015118
	v_mul_f32_dpp v66, v24, v66 row_newbcast:2 row_mask:0xf bank_mask:0xf// 000000003AB8: 0A8484FA FF015218
	v_mul_f32_dpp v67, v24, v67 row_newbcast:3 row_mask:0xf bank_mask:0xf// 000000003AC0: 0A8686FA FF015318
	v_cvt_f32_i32_e32 v68, v68                                 // 000000003AC8: 7E880B44
	v_cvt_f32_i32_e32 v69, v69                                 // 000000003ACC: 7E8A0B45
	v_cvt_f32_i32_e32 v70, v70                                 // 000000003AD0: 7E8C0B46
	v_cvt_f32_i32_e32 v71, v71                                 // 000000003AD4: 7E8E0B47
	v_mul_f32_dpp v68, v24, v68 row_newbcast:0 row_mask:0xf bank_mask:0xf// 000000003AD8: 0A8888FA FF015018
	v_mul_f32_dpp v69, v24, v69 row_newbcast:1 row_mask:0xf bank_mask:0xf// 000000003AE0: 0A8A8AFA FF015118
	v_mul_f32_dpp v70, v24, v70 row_newbcast:2 row_mask:0xf bank_mask:0xf// 000000003AE8: 0A8C8CFA FF015218
	v_mul_f32_dpp v71, v24, v71 row_newbcast:3 row_mask:0xf bank_mask:0xf// 000000003AF0: 0A8E8EFA FF015318
	v_cvt_f32_i32_e32 v72, v72                                 // 000000003AF8: 7E900B48
	v_cvt_f32_i32_e32 v73, v73                                 // 000000003AFC: 7E920B49
	v_cvt_f32_i32_e32 v74, v74                                 // 000000003B00: 7E940B4A
	v_cvt_f32_i32_e32 v75, v75                                 // 000000003B04: 7E960B4B
	v_mul_f32_dpp v72, v24, v72 row_newbcast:4 row_mask:0xf bank_mask:0xf// 000000003B08: 0A9090FA FF015418
	v_mul_f32_dpp v73, v24, v73 row_newbcast:5 row_mask:0xf bank_mask:0xf// 000000003B10: 0A9292FA FF015518
	v_mul_f32_dpp v74, v24, v74 row_newbcast:6 row_mask:0xf bank_mask:0xf// 000000003B18: 0A9494FA FF015618
	v_mul_f32_dpp v75, v24, v75 row_newbcast:7 row_mask:0xf bank_mask:0xf// 000000003B20: 0A9696FA FF015718
	v_cvt_f32_i32_e32 v76, v76                                 // 000000003B28: 7E980B4C
	v_cvt_f32_i32_e32 v77, v77                                 // 000000003B2C: 7E9A0B4D
	v_cvt_f32_i32_e32 v78, v78                                 // 000000003B30: 7E9C0B4E
	v_cvt_f32_i32_e32 v79, v79                                 // 000000003B34: 7E9E0B4F
	v_mul_f32_dpp v76, v24, v76 row_newbcast:4 row_mask:0xf bank_mask:0xf// 000000003B38: 0A9898FA FF015418
	v_mul_f32_dpp v77, v24, v77 row_newbcast:5 row_mask:0xf bank_mask:0xf// 000000003B40: 0A9A9AFA FF015518
	v_mul_f32_dpp v78, v24, v78 row_newbcast:6 row_mask:0xf bank_mask:0xf// 000000003B48: 0A9C9CFA FF015618
	v_mul_f32_dpp v79, v24, v79 row_newbcast:7 row_mask:0xf bank_mask:0xf// 000000003B50: 0A9E9EFA FF015718
	v_cvt_f32_i32_e32 v80, v80                                 // 000000003B58: 7EA00B50
	v_cvt_f32_i32_e32 v81, v81                                 // 000000003B5C: 7EA20B51
	v_cvt_f32_i32_e32 v82, v82                                 // 000000003B60: 7EA40B52
	v_cvt_f32_i32_e32 v83, v83                                 // 000000003B64: 7EA60B53
	v_mul_f32_dpp v80, v24, v80 row_newbcast:4 row_mask:0xf bank_mask:0xf// 000000003B68: 0AA0A0FA FF015418
	v_mul_f32_dpp v81, v24, v81 row_newbcast:5 row_mask:0xf bank_mask:0xf// 000000003B70: 0AA2A2FA FF015518
	v_mul_f32_dpp v82, v24, v82 row_newbcast:6 row_mask:0xf bank_mask:0xf// 000000003B78: 0AA4A4FA FF015618
	v_mul_f32_dpp v83, v24, v83 row_newbcast:7 row_mask:0xf bank_mask:0xf// 000000003B80: 0AA6A6FA FF015718
	v_cvt_f32_i32_e32 v84, v84                                 // 000000003B88: 7EA80B54
	v_cvt_f32_i32_e32 v85, v85                                 // 000000003B8C: 7EAA0B55
	v_cvt_f32_i32_e32 v86, v86                                 // 000000003B90: 7EAC0B56
	v_cvt_f32_i32_e32 v87, v87                                 // 000000003B94: 7EAE0B57
	v_mul_f32_dpp v84, v24, v84 row_newbcast:4 row_mask:0xf bank_mask:0xf// 000000003B98: 0AA8A8FA FF015418
	v_mul_f32_dpp v85, v24, v85 row_newbcast:5 row_mask:0xf bank_mask:0xf// 000000003BA0: 0AAAAAFA FF015518
	v_mul_f32_dpp v86, v24, v86 row_newbcast:6 row_mask:0xf bank_mask:0xf// 000000003BA8: 0AACACFA FF015618
	v_mul_f32_dpp v87, v24, v87 row_newbcast:7 row_mask:0xf bank_mask:0xf// 000000003BB0: 0AAEAEFA FF015718
	v_cvt_f32_i32_e32 v88, v88                                 // 000000003BB8: 7EB00B58
	v_cvt_f32_i32_e32 v89, v89                                 // 000000003BBC: 7EB20B59
	v_cvt_f32_i32_e32 v90, v90                                 // 000000003BC0: 7EB40B5A
	v_cvt_f32_i32_e32 v91, v91                                 // 000000003BC4: 7EB60B5B
	v_mul_f32_dpp v88, v26, v88 row_newbcast:0 row_mask:0xf bank_mask:0xf// 000000003BC8: 0AB0B0FA FF01501A
	v_mul_f32_dpp v89, v26, v89 row_newbcast:1 row_mask:0xf bank_mask:0xf// 000000003BD0: 0AB2B2FA FF01511A
	v_mul_f32_dpp v90, v26, v90 row_newbcast:2 row_mask:0xf bank_mask:0xf// 000000003BD8: 0AB4B4FA FF01521A
	v_mul_f32_dpp v91, v26, v91 row_newbcast:3 row_mask:0xf bank_mask:0xf// 000000003BE0: 0AB6B6FA FF01531A
	v_cvt_f32_i32_e32 v92, v92                                 // 000000003BE8: 7EB80B5C
	v_cvt_f32_i32_e32 v93, v93                                 // 000000003BEC: 7EBA0B5D
	v_cvt_f32_i32_e32 v94, v94                                 // 000000003BF0: 7EBC0B5E
	v_cvt_f32_i32_e32 v95, v95                                 // 000000003BF4: 7EBE0B5F
	v_mul_f32_dpp v92, v26, v92 row_newbcast:0 row_mask:0xf bank_mask:0xf// 000000003BF8: 0AB8B8FA FF01501A
	v_mul_f32_dpp v93, v26, v93 row_newbcast:1 row_mask:0xf bank_mask:0xf// 000000003C00: 0ABABAFA FF01511A
	v_mul_f32_dpp v94, v26, v94 row_newbcast:2 row_mask:0xf bank_mask:0xf// 000000003C08: 0ABCBCFA FF01521A
	v_mul_f32_dpp v95, v26, v95 row_newbcast:3 row_mask:0xf bank_mask:0xf// 000000003C10: 0ABEBEFA FF01531A
	v_cvt_f32_i32_e32 v96, v96                                 // 000000003C18: 7EC00B60
	v_cvt_f32_i32_e32 v97, v97                                 // 000000003C1C: 7EC20B61
	v_cvt_f32_i32_e32 v98, v98                                 // 000000003C20: 7EC40B62
	v_cvt_f32_i32_e32 v99, v99                                 // 000000003C24: 7EC60B63
	v_mul_f32_dpp v96, v26, v96 row_newbcast:0 row_mask:0xf bank_mask:0xf// 000000003C28: 0AC0C0FA FF01501A
	v_mul_f32_dpp v97, v26, v97 row_newbcast:1 row_mask:0xf bank_mask:0xf// 000000003C30: 0AC2C2FA FF01511A
	v_mul_f32_dpp v98, v26, v98 row_newbcast:2 row_mask:0xf bank_mask:0xf// 000000003C38: 0AC4C4FA FF01521A
	v_mul_f32_dpp v99, v26, v99 row_newbcast:3 row_mask:0xf bank_mask:0xf// 000000003C40: 0AC6C6FA FF01531A
	v_cvt_f32_i32_e32 v100, v100                               // 000000003C48: 7EC80B64
	v_cvt_f32_i32_e32 v101, v101                               // 000000003C4C: 7ECA0B65
	v_cvt_f32_i32_e32 v102, v102                               // 000000003C50: 7ECC0B66
	v_cvt_f32_i32_e32 v103, v103                               // 000000003C54: 7ECE0B67
	v_mul_f32_dpp v100, v26, v100 row_newbcast:0 row_mask:0xf bank_mask:0xf// 000000003C58: 0AC8C8FA FF01501A
	v_mul_f32_dpp v101, v26, v101 row_newbcast:1 row_mask:0xf bank_mask:0xf// 000000003C60: 0ACACAFA FF01511A
	v_mul_f32_dpp v102, v26, v102 row_newbcast:2 row_mask:0xf bank_mask:0xf// 000000003C68: 0ACCCCFA FF01521A
	v_mul_f32_dpp v103, v26, v103 row_newbcast:3 row_mask:0xf bank_mask:0xf// 000000003C70: 0ACECEFA FF01531A
	v_cvt_f32_i32_e32 v104, v104                               // 000000003C78: 7ED00B68
	v_cvt_f32_i32_e32 v105, v105                               // 000000003C7C: 7ED20B69
	v_cvt_f32_i32_e32 v106, v106                               // 000000003C80: 7ED40B6A
	v_cvt_f32_i32_e32 v107, v107                               // 000000003C84: 7ED60B6B
	v_mul_f32_dpp v104, v26, v104 row_newbcast:4 row_mask:0xf bank_mask:0xf// 000000003C88: 0AD0D0FA FF01541A
	v_mul_f32_dpp v105, v26, v105 row_newbcast:5 row_mask:0xf bank_mask:0xf// 000000003C90: 0AD2D2FA FF01551A
	v_mul_f32_dpp v106, v26, v106 row_newbcast:6 row_mask:0xf bank_mask:0xf// 000000003C98: 0AD4D4FA FF01561A
	v_mul_f32_dpp v107, v26, v107 row_newbcast:7 row_mask:0xf bank_mask:0xf// 000000003CA0: 0AD6D6FA FF01571A
	v_cvt_f32_i32_e32 v108, v108                               // 000000003CA8: 7ED80B6C
	v_cvt_f32_i32_e32 v109, v109                               // 000000003CAC: 7EDA0B6D
	v_cvt_f32_i32_e32 v110, v110                               // 000000003CB0: 7EDC0B6E
	v_cvt_f32_i32_e32 v111, v111                               // 000000003CB4: 7EDE0B6F
	v_mul_f32_dpp v108, v26, v108 row_newbcast:4 row_mask:0xf bank_mask:0xf// 000000003CB8: 0AD8D8FA FF01541A
	v_mul_f32_dpp v109, v26, v109 row_newbcast:5 row_mask:0xf bank_mask:0xf// 000000003CC0: 0ADADAFA FF01551A
	v_mul_f32_dpp v110, v26, v110 row_newbcast:6 row_mask:0xf bank_mask:0xf// 000000003CC8: 0ADCDCFA FF01561A
	v_mul_f32_dpp v111, v26, v111 row_newbcast:7 row_mask:0xf bank_mask:0xf// 000000003CD0: 0ADEDEFA FF01571A
	v_cvt_f32_i32_e32 v112, v112                               // 000000003CD8: 7EE00B70
	v_cvt_f32_i32_e32 v113, v113                               // 000000003CDC: 7EE20B71
	v_cvt_f32_i32_e32 v114, v114                               // 000000003CE0: 7EE40B72
	v_cvt_f32_i32_e32 v115, v115                               // 000000003CE4: 7EE60B73
	v_mul_f32_dpp v112, v26, v112 row_newbcast:4 row_mask:0xf bank_mask:0xf// 000000003CE8: 0AE0E0FA FF01541A
	v_mul_f32_dpp v113, v26, v113 row_newbcast:5 row_mask:0xf bank_mask:0xf// 000000003CF0: 0AE2E2FA FF01551A
	v_mul_f32_dpp v114, v26, v114 row_newbcast:6 row_mask:0xf bank_mask:0xf// 000000003CF8: 0AE4E4FA FF01561A
	v_mul_f32_dpp v115, v26, v115 row_newbcast:7 row_mask:0xf bank_mask:0xf// 000000003D00: 0AE6E6FA FF01571A
	v_cvt_f32_i32_e32 v116, v116                               // 000000003D08: 7EE80B74
	v_cvt_f32_i32_e32 v117, v117                               // 000000003D0C: 7EEA0B75
	v_cvt_f32_i32_e32 v118, v118                               // 000000003D10: 7EEC0B76
	v_cvt_f32_i32_e32 v119, v119                               // 000000003D14: 7EEE0B77
	v_mul_f32_dpp v116, v26, v116 row_newbcast:4 row_mask:0xf bank_mask:0xf// 000000003D18: 0AE8E8FA FF01541A
	v_mul_f32_dpp v117, v26, v117 row_newbcast:5 row_mask:0xf bank_mask:0xf// 000000003D20: 0AEAEAFA FF01551A
	v_mul_f32_dpp v118, v26, v118 row_newbcast:6 row_mask:0xf bank_mask:0xf// 000000003D28: 0AECECFA FF01561A
	v_mul_f32_dpp v119, v26, v119 row_newbcast:7 row_mask:0xf bank_mask:0xf// 000000003D30: 0AEEEEFA FF01571A
	v_mov_b32_e32 v4, v32                                      // 000000003D38: 7E080320
	v_mov_b32_e32 v5, v4                                       // 000000003D3C: 7E0A0304
	v_pk_mul_f32 v[56:57], v[4:5], v[56:57]                    // 000000003D40: D3B14038 18027104
	v_pk_mul_f32 v[88:89], v[4:5], v[88:89]                    // 000000003D48: D3B14058 1802B104
	v_pk_mul_f32 v[58:59], v[4:5], v[58:59]                    // 000000003D50: D3B1403A 18027504
	v_pk_mul_f32 v[90:91], v[4:5], v[90:91]                    // 000000003D58: D3B1405A 1802B504
	v_pk_mul_f32 v[72:73], v[4:5], v[72:73]                    // 000000003D60: D3B14048 18029104
	v_pk_mul_f32 v[104:105], v[4:5], v[104:105]                // 000000003D68: D3B14068 1802D104
	v_pk_mul_f32 v[74:75], v[4:5], v[74:75]                    // 000000003D70: D3B1404A 18029504
	v_pk_mul_f32 v[106:107], v[4:5], v[106:107]                // 000000003D78: D3B1406A 1802D504
	v_mov_b32_e32 v4, v33                                      // 000000003D80: 7E080321
	v_mov_b32_e32 v5, v4                                       // 000000003D84: 7E0A0304
	v_pk_mul_f32 v[60:61], v[4:5], v[60:61]                    // 000000003D88: D3B1403C 18027904
	v_pk_mul_f32 v[92:93], v[4:5], v[92:93]                    // 000000003D90: D3B1405C 1802B904
	v_pk_mul_f32 v[62:63], v[4:5], v[62:63]                    // 000000003D98: D3B1403E 18027D04
	v_pk_mul_f32 v[94:95], v[4:5], v[94:95]                    // 000000003DA0: D3B1405E 1802BD04
	v_pk_mul_f32 v[76:77], v[4:5], v[76:77]                    // 000000003DA8: D3B1404C 18029904
	v_pk_mul_f32 v[108:109], v[4:5], v[108:109]                // 000000003DB0: D3B1406C 1802D904
	v_pk_mul_f32 v[78:79], v[4:5], v[78:79]                    // 000000003DB8: D3B1404E 18029D04
	v_pk_mul_f32 v[110:111], v[4:5], v[110:111]                // 000000003DC0: D3B1406E 1802DD04
	v_mov_b32_e32 v4, v34                                      // 000000003DC8: 7E080322
	v_mov_b32_e32 v5, v4                                       // 000000003DCC: 7E0A0304
	v_pk_mul_f32 v[64:65], v[4:5], v[64:65]                    // 000000003DD0: D3B14040 18028104
	v_pk_mul_f32 v[96:97], v[4:5], v[96:97]                    // 000000003DD8: D3B14060 1802C104
	v_pk_mul_f32 v[66:67], v[4:5], v[66:67]                    // 000000003DE0: D3B14042 18028504
	v_pk_mul_f32 v[98:99], v[4:5], v[98:99]                    // 000000003DE8: D3B14062 1802C504
	v_pk_mul_f32 v[80:81], v[4:5], v[80:81]                    // 000000003DF0: D3B14050 1802A104
	v_pk_mul_f32 v[112:113], v[4:5], v[112:113]                // 000000003DF8: D3B14070 1802E104
	v_pk_mul_f32 v[82:83], v[4:5], v[82:83]                    // 000000003E00: D3B14052 1802A504
	v_pk_mul_f32 v[114:115], v[4:5], v[114:115]                // 000000003E08: D3B14072 1802E504
	v_mov_b32_e32 v4, v35                                      // 000000003E10: 7E080323
	v_mov_b32_e32 v5, v4                                       // 000000003E14: 7E0A0304
	v_pk_mul_f32 v[68:69], v[4:5], v[68:69]                    // 000000003E18: D3B14044 18028904
	v_pk_mul_f32 v[100:101], v[4:5], v[100:101]                // 000000003E20: D3B14064 1802C904
	v_pk_mul_f32 v[70:71], v[4:5], v[70:71]                    // 000000003E28: D3B14046 18028D04
	v_pk_mul_f32 v[102:103], v[4:5], v[102:103]                // 000000003E30: D3B14066 1802CD04
	v_pk_mul_f32 v[84:85], v[4:5], v[84:85]                    // 000000003E38: D3B14054 1802A904
	v_pk_mul_f32 v[116:117], v[4:5], v[116:117]                // 000000003E40: D3B14074 1802E904
	v_pk_mul_f32 v[86:87], v[4:5], v[86:87]                    // 000000003E48: D3B14056 1802AD04
	v_pk_mul_f32 v[118:119], v[4:5], v[118:119]                // 000000003E50: D3B14076 1802ED04
	s_cmp_eq_u32 s88, 0                                        // 000000003E58: BF068058
	s_cbranch_scc0 label_09D9                                  // 000000003E5C: BF8404C1
	s_cmp_eq_u32 s89, 0                                        // 000000003E60: BF068059
	s_cbranch_scc1 label_065F                                  // 000000003E64: BF850145
	v_mov_b32_e32 v8, v1                                       // 000000003E68: 7E100301
	v_mov_b32_e32 v9, v1                                       // 000000003E6C: 7E120301
	s_mov_b32 s60, s6                                          // 000000003E70: BEBC0006
	s_mov_b32 s61, s6                                          // 000000003E74: BEBD0006
	v_pk_mul_f32 v[4:5], v[56:57], v[56:57]                    // 000000003E78: D3B14004 18027138
	v_pk_mul_f32 v[6:7], v[58:59], v[58:59]                    // 000000003E80: D3B14006 1802753A
	v_pk_fma_f32 v[4:5], v[4:5], s[78:79], v[8:9]              // 000000003E88: D3B04004 1C209D04
	v_pk_fma_f32 v[6:7], v[6:7], s[78:79], v[8:9]              // 000000003E90: D3B04006 1C209D06
	v_pk_mul_f32 v[4:5], v[4:5], v[56:57]                      // 000000003E98: D3B14004 18027104
	v_pk_mul_f32 v[6:7], v[6:7], v[58:59]                      // 000000003EA0: D3B14006 18027506
	v_pk_mul_f32 v[4:5], v[4:5], s[60:61]                      // 000000003EA8: D3B14004 18007904
	v_pk_mul_f32 v[6:7], v[6:7], s[60:61]                      // 000000003EB0: D3B14006 18007906
	v_exp_f32_e32 v4, v4                                       // 000000003EB8: 7E084104
	v_exp_f32_e32 v5, v5                                       // 000000003EBC: 7E0A4105
	v_exp_f32_e32 v6, v6                                       // 000000003EC0: 7E0C4106
	v_exp_f32_e32 v7, v7                                       // 000000003EC4: 7E0E4107
	v_add_f32_e64 v4, v4, 1.0                                  // 000000003EC8: D1010004 0001E504
	v_add_f32_e64 v5, v5, 1.0                                  // 000000003ED0: D1010005 0001E505
	v_add_f32_e64 v6, v6, 1.0                                  // 000000003ED8: D1010006 0001E506
	v_add_f32_e64 v7, v7, 1.0                                  // 000000003EE0: D1010007 0001E507
	v_rcp_f32_e32 v4, v4                                       // 000000003EE8: 7E084504
	v_rcp_f32_e32 v5, v5                                       // 000000003EEC: 7E0A4505
	v_rcp_f32_e32 v6, v6                                       // 000000003EF0: 7E0C4506
	v_rcp_f32_e32 v7, v7                                       // 000000003EF4: 7E0E4507
	v_mul_f32_e32 v56, v56, v4                                 // 000000003EF8: 0A700938
	v_mul_f32_e32 v57, v57, v5                                 // 000000003EFC: 0A720B39
	v_mul_f32_e32 v58, v58, v6                                 // 000000003F00: 0A740D3A
	v_mul_f32_e32 v59, v59, v7                                 // 000000003F04: 0A760F3B
	v_mul_f32_e32 v56, v56, v88                                // 000000003F08: 0A70B138
	v_mul_f32_e32 v57, v57, v89                                // 000000003F0C: 0A72B339
	v_mul_f32_e32 v58, v58, v90                                // 000000003F10: 0A74B53A
	v_mul_f32_e32 v59, v59, v91                                // 000000003F14: 0A76B73B
	v_pk_mul_f32 v[4:5], v[60:61], v[60:61]                    // 000000003F18: D3B14004 1802793C
	v_pk_mul_f32 v[6:7], v[62:63], v[62:63]                    // 000000003F20: D3B14006 18027D3E
	v_pk_fma_f32 v[4:5], v[4:5], s[78:79], v[8:9]              // 000000003F28: D3B04004 1C209D04
	v_pk_fma_f32 v[6:7], v[6:7], s[78:79], v[8:9]              // 000000003F30: D3B04006 1C209D06
	v_pk_mul_f32 v[4:5], v[4:5], v[60:61]                      // 000000003F38: D3B14004 18027904
	v_pk_mul_f32 v[6:7], v[6:7], v[62:63]                      // 000000003F40: D3B14006 18027D06
	v_pk_mul_f32 v[4:5], v[4:5], s[60:61]                      // 000000003F48: D3B14004 18007904
	v_pk_mul_f32 v[6:7], v[6:7], s[60:61]                      // 000000003F50: D3B14006 18007906
	v_exp_f32_e32 v4, v4                                       // 000000003F58: 7E084104
	v_exp_f32_e32 v5, v5                                       // 000000003F5C: 7E0A4105
	v_exp_f32_e32 v6, v6                                       // 000000003F60: 7E0C4106
	v_exp_f32_e32 v7, v7                                       // 000000003F64: 7E0E4107
	v_add_f32_e64 v4, v4, 1.0                                  // 000000003F68: D1010004 0001E504
	v_add_f32_e64 v5, v5, 1.0                                  // 000000003F70: D1010005 0001E505
	v_add_f32_e64 v6, v6, 1.0                                  // 000000003F78: D1010006 0001E506
	v_add_f32_e64 v7, v7, 1.0                                  // 000000003F80: D1010007 0001E507
	v_rcp_f32_e32 v4, v4                                       // 000000003F88: 7E084504
	v_rcp_f32_e32 v5, v5                                       // 000000003F8C: 7E0A4505
	v_rcp_f32_e32 v6, v6                                       // 000000003F90: 7E0C4506
	v_rcp_f32_e32 v7, v7                                       // 000000003F94: 7E0E4507
	v_mul_f32_e32 v60, v60, v4                                 // 000000003F98: 0A78093C
	v_mul_f32_e32 v61, v61, v5                                 // 000000003F9C: 0A7A0B3D
	v_mul_f32_e32 v62, v62, v6                                 // 000000003FA0: 0A7C0D3E
	v_mul_f32_e32 v63, v63, v7                                 // 000000003FA4: 0A7E0F3F
	v_mul_f32_e32 v60, v60, v92                                // 000000003FA8: 0A78B93C
	v_mul_f32_e32 v61, v61, v93                                // 000000003FAC: 0A7ABB3D
	v_mul_f32_e32 v62, v62, v94                                // 000000003FB0: 0A7CBD3E
	v_mul_f32_e32 v63, v63, v95                                // 000000003FB4: 0A7EBF3F
	v_pk_mul_f32 v[4:5], v[64:65], v[64:65]                    // 000000003FB8: D3B14004 18028140
	v_pk_mul_f32 v[6:7], v[66:67], v[66:67]                    // 000000003FC0: D3B14006 18028542
	v_pk_fma_f32 v[4:5], v[4:5], s[78:79], v[8:9]              // 000000003FC8: D3B04004 1C209D04
	v_pk_fma_f32 v[6:7], v[6:7], s[78:79], v[8:9]              // 000000003FD0: D3B04006 1C209D06
	v_pk_mul_f32 v[4:5], v[4:5], v[64:65]                      // 000000003FD8: D3B14004 18028104
	v_pk_mul_f32 v[6:7], v[6:7], v[66:67]                      // 000000003FE0: D3B14006 18028506
	v_pk_mul_f32 v[4:5], v[4:5], s[60:61]                      // 000000003FE8: D3B14004 18007904
	v_pk_mul_f32 v[6:7], v[6:7], s[60:61]                      // 000000003FF0: D3B14006 18007906
	v_exp_f32_e32 v4, v4                                       // 000000003FF8: 7E084104
	v_exp_f32_e32 v5, v5                                       // 000000003FFC: 7E0A4105
	v_exp_f32_e32 v6, v6                                       // 000000004000: 7E0C4106
	v_exp_f32_e32 v7, v7                                       // 000000004004: 7E0E4107
	v_add_f32_e64 v4, v4, 1.0                                  // 000000004008: D1010004 0001E504
	v_add_f32_e64 v5, v5, 1.0                                  // 000000004010: D1010005 0001E505
	v_add_f32_e64 v6, v6, 1.0                                  // 000000004018: D1010006 0001E506
	v_add_f32_e64 v7, v7, 1.0                                  // 000000004020: D1010007 0001E507
	v_rcp_f32_e32 v4, v4                                       // 000000004028: 7E084504
	v_rcp_f32_e32 v5, v5                                       // 00000000402C: 7E0A4505
	v_rcp_f32_e32 v6, v6                                       // 000000004030: 7E0C4506
	v_rcp_f32_e32 v7, v7                                       // 000000004034: 7E0E4507
	v_mul_f32_e32 v64, v64, v4                                 // 000000004038: 0A800940
	v_mul_f32_e32 v65, v65, v5                                 // 00000000403C: 0A820B41
	v_mul_f32_e32 v66, v66, v6                                 // 000000004040: 0A840D42
	v_mul_f32_e32 v67, v67, v7                                 // 000000004044: 0A860F43
	v_mul_f32_e32 v64, v64, v96                                // 000000004048: 0A80C140
	v_mul_f32_e32 v65, v65, v97                                // 00000000404C: 0A82C341
	v_mul_f32_e32 v66, v66, v98                                // 000000004050: 0A84C542
	v_mul_f32_e32 v67, v67, v99                                // 000000004054: 0A86C743
	v_pk_mul_f32 v[4:5], v[68:69], v[68:69]                    // 000000004058: D3B14004 18028944
	v_pk_mul_f32 v[6:7], v[70:71], v[70:71]                    // 000000004060: D3B14006 18028D46
	v_pk_fma_f32 v[4:5], v[4:5], s[78:79], v[8:9]              // 000000004068: D3B04004 1C209D04
	v_pk_fma_f32 v[6:7], v[6:7], s[78:79], v[8:9]              // 000000004070: D3B04006 1C209D06
	v_pk_mul_f32 v[4:5], v[4:5], v[68:69]                      // 000000004078: D3B14004 18028904
	v_pk_mul_f32 v[6:7], v[6:7], v[70:71]                      // 000000004080: D3B14006 18028D06
	v_pk_mul_f32 v[4:5], v[4:5], s[60:61]                      // 000000004088: D3B14004 18007904
	v_pk_mul_f32 v[6:7], v[6:7], s[60:61]                      // 000000004090: D3B14006 18007906
	v_exp_f32_e32 v4, v4                                       // 000000004098: 7E084104
	v_exp_f32_e32 v5, v5                                       // 00000000409C: 7E0A4105
	v_exp_f32_e32 v6, v6                                       // 0000000040A0: 7E0C4106
	v_exp_f32_e32 v7, v7                                       // 0000000040A4: 7E0E4107
	v_add_f32_e64 v4, v4, 1.0                                  // 0000000040A8: D1010004 0001E504
	v_add_f32_e64 v5, v5, 1.0                                  // 0000000040B0: D1010005 0001E505
	v_add_f32_e64 v6, v6, 1.0                                  // 0000000040B8: D1010006 0001E506
	v_add_f32_e64 v7, v7, 1.0                                  // 0000000040C0: D1010007 0001E507
	v_rcp_f32_e32 v4, v4                                       // 0000000040C8: 7E084504
	v_rcp_f32_e32 v5, v5                                       // 0000000040CC: 7E0A4505
	v_rcp_f32_e32 v6, v6                                       // 0000000040D0: 7E0C4506
	v_rcp_f32_e32 v7, v7                                       // 0000000040D4: 7E0E4507
	v_mul_f32_e32 v68, v68, v4                                 // 0000000040D8: 0A880944
	v_mul_f32_e32 v69, v69, v5                                 // 0000000040DC: 0A8A0B45
	v_mul_f32_e32 v70, v70, v6                                 // 0000000040E0: 0A8C0D46
	v_mul_f32_e32 v71, v71, v7                                 // 0000000040E4: 0A8E0F47
	v_mul_f32_e32 v68, v68, v100                               // 0000000040E8: 0A88C944
	v_mul_f32_e32 v69, v69, v101                               // 0000000040EC: 0A8ACB45
	v_mul_f32_e32 v70, v70, v102                               // 0000000040F0: 0A8CCD46
	v_mul_f32_e32 v71, v71, v103                               // 0000000040F4: 0A8ECF47
	v_pk_mul_f32 v[4:5], v[72:73], v[72:73]                    // 0000000040F8: D3B14004 18029148
	v_pk_mul_f32 v[6:7], v[74:75], v[74:75]                    // 000000004100: D3B14006 1802954A
	v_pk_fma_f32 v[4:5], v[4:5], s[78:79], v[8:9]              // 000000004108: D3B04004 1C209D04
	v_pk_fma_f32 v[6:7], v[6:7], s[78:79], v[8:9]              // 000000004110: D3B04006 1C209D06
	v_pk_mul_f32 v[4:5], v[4:5], v[72:73]                      // 000000004118: D3B14004 18029104
	v_pk_mul_f32 v[6:7], v[6:7], v[74:75]                      // 000000004120: D3B14006 18029506
	v_pk_mul_f32 v[4:5], v[4:5], s[60:61]                      // 000000004128: D3B14004 18007904
	v_pk_mul_f32 v[6:7], v[6:7], s[60:61]                      // 000000004130: D3B14006 18007906
	v_exp_f32_e32 v4, v4                                       // 000000004138: 7E084104
	v_exp_f32_e32 v5, v5                                       // 00000000413C: 7E0A4105
	v_exp_f32_e32 v6, v6                                       // 000000004140: 7E0C4106
	v_exp_f32_e32 v7, v7                                       // 000000004144: 7E0E4107
	v_add_f32_e64 v4, v4, 1.0                                  // 000000004148: D1010004 0001E504
	v_add_f32_e64 v5, v5, 1.0                                  // 000000004150: D1010005 0001E505
	v_add_f32_e64 v6, v6, 1.0                                  // 000000004158: D1010006 0001E506
	v_add_f32_e64 v7, v7, 1.0                                  // 000000004160: D1010007 0001E507
	v_rcp_f32_e32 v4, v4                                       // 000000004168: 7E084504
	v_rcp_f32_e32 v5, v5                                       // 00000000416C: 7E0A4505
	v_rcp_f32_e32 v6, v6                                       // 000000004170: 7E0C4506
	v_rcp_f32_e32 v7, v7                                       // 000000004174: 7E0E4507
	v_mul_f32_e32 v72, v72, v4                                 // 000000004178: 0A900948
	v_mul_f32_e32 v73, v73, v5                                 // 00000000417C: 0A920B49
	v_mul_f32_e32 v74, v74, v6                                 // 000000004180: 0A940D4A
	v_mul_f32_e32 v75, v75, v7                                 // 000000004184: 0A960F4B
	v_mul_f32_e32 v72, v72, v104                               // 000000004188: 0A90D148
	v_mul_f32_e32 v73, v73, v105                               // 00000000418C: 0A92D349
	v_mul_f32_e32 v74, v74, v106                               // 000000004190: 0A94D54A
	v_mul_f32_e32 v75, v75, v107                               // 000000004194: 0A96D74B
	v_pk_mul_f32 v[4:5], v[76:77], v[76:77]                    // 000000004198: D3B14004 1802994C
	v_pk_mul_f32 v[6:7], v[78:79], v[78:79]                    // 0000000041A0: D3B14006 18029D4E
	v_pk_fma_f32 v[4:5], v[4:5], s[78:79], v[8:9]              // 0000000041A8: D3B04004 1C209D04
	v_pk_fma_f32 v[6:7], v[6:7], s[78:79], v[8:9]              // 0000000041B0: D3B04006 1C209D06
	v_pk_mul_f32 v[4:5], v[4:5], v[76:77]                      // 0000000041B8: D3B14004 18029904
	v_pk_mul_f32 v[6:7], v[6:7], v[78:79]                      // 0000000041C0: D3B14006 18029D06
	v_pk_mul_f32 v[4:5], v[4:5], s[60:61]                      // 0000000041C8: D3B14004 18007904
	v_pk_mul_f32 v[6:7], v[6:7], s[60:61]                      // 0000000041D0: D3B14006 18007906
	v_exp_f32_e32 v4, v4                                       // 0000000041D8: 7E084104
	v_exp_f32_e32 v5, v5                                       // 0000000041DC: 7E0A4105
	v_exp_f32_e32 v6, v6                                       // 0000000041E0: 7E0C4106
	v_exp_f32_e32 v7, v7                                       // 0000000041E4: 7E0E4107
	v_add_f32_e64 v4, v4, 1.0                                  // 0000000041E8: D1010004 0001E504
	v_add_f32_e64 v5, v5, 1.0                                  // 0000000041F0: D1010005 0001E505
	v_add_f32_e64 v6, v6, 1.0                                  // 0000000041F8: D1010006 0001E506
	v_add_f32_e64 v7, v7, 1.0                                  // 000000004200: D1010007 0001E507
	v_rcp_f32_e32 v4, v4                                       // 000000004208: 7E084504
	v_rcp_f32_e32 v5, v5                                       // 00000000420C: 7E0A4505
	v_rcp_f32_e32 v6, v6                                       // 000000004210: 7E0C4506
	v_rcp_f32_e32 v7, v7                                       // 000000004214: 7E0E4507
	v_mul_f32_e32 v76, v76, v4                                 // 000000004218: 0A98094C
	v_mul_f32_e32 v77, v77, v5                                 // 00000000421C: 0A9A0B4D
	v_mul_f32_e32 v78, v78, v6                                 // 000000004220: 0A9C0D4E
	v_mul_f32_e32 v79, v79, v7                                 // 000000004224: 0A9E0F4F
	v_mul_f32_e32 v76, v76, v108                               // 000000004228: 0A98D94C
	v_mul_f32_e32 v77, v77, v109                               // 00000000422C: 0A9ADB4D
	v_mul_f32_e32 v78, v78, v110                               // 000000004230: 0A9CDD4E
	v_mul_f32_e32 v79, v79, v111                               // 000000004234: 0A9EDF4F
	v_pk_mul_f32 v[4:5], v[80:81], v[80:81]                    // 000000004238: D3B14004 1802A150
	v_pk_mul_f32 v[6:7], v[82:83], v[82:83]                    // 000000004240: D3B14006 1802A552
	v_pk_fma_f32 v[4:5], v[4:5], s[78:79], v[8:9]              // 000000004248: D3B04004 1C209D04
	v_pk_fma_f32 v[6:7], v[6:7], s[78:79], v[8:9]              // 000000004250: D3B04006 1C209D06
	v_pk_mul_f32 v[4:5], v[4:5], v[80:81]                      // 000000004258: D3B14004 1802A104
	v_pk_mul_f32 v[6:7], v[6:7], v[82:83]                      // 000000004260: D3B14006 1802A506
	v_pk_mul_f32 v[4:5], v[4:5], s[60:61]                      // 000000004268: D3B14004 18007904
	v_pk_mul_f32 v[6:7], v[6:7], s[60:61]                      // 000000004270: D3B14006 18007906
	v_exp_f32_e32 v4, v4                                       // 000000004278: 7E084104
	v_exp_f32_e32 v5, v5                                       // 00000000427C: 7E0A4105
	v_exp_f32_e32 v6, v6                                       // 000000004280: 7E0C4106
	v_exp_f32_e32 v7, v7                                       // 000000004284: 7E0E4107
	v_add_f32_e64 v4, v4, 1.0                                  // 000000004288: D1010004 0001E504
	v_add_f32_e64 v5, v5, 1.0                                  // 000000004290: D1010005 0001E505
	v_add_f32_e64 v6, v6, 1.0                                  // 000000004298: D1010006 0001E506
	v_add_f32_e64 v7, v7, 1.0                                  // 0000000042A0: D1010007 0001E507
	v_rcp_f32_e32 v4, v4                                       // 0000000042A8: 7E084504
	v_rcp_f32_e32 v5, v5                                       // 0000000042AC: 7E0A4505
	v_rcp_f32_e32 v6, v6                                       // 0000000042B0: 7E0C4506
	v_rcp_f32_e32 v7, v7                                       // 0000000042B4: 7E0E4507
	v_mul_f32_e32 v80, v80, v4                                 // 0000000042B8: 0AA00950
	v_mul_f32_e32 v81, v81, v5                                 // 0000000042BC: 0AA20B51
	v_mul_f32_e32 v82, v82, v6                                 // 0000000042C0: 0AA40D52
	v_mul_f32_e32 v83, v83, v7                                 // 0000000042C4: 0AA60F53
	v_mul_f32_e32 v80, v80, v112                               // 0000000042C8: 0AA0E150
	v_mul_f32_e32 v81, v81, v113                               // 0000000042CC: 0AA2E351
	v_mul_f32_e32 v82, v82, v114                               // 0000000042D0: 0AA4E552
	v_mul_f32_e32 v83, v83, v115                               // 0000000042D4: 0AA6E753
	v_pk_mul_f32 v[4:5], v[84:85], v[84:85]                    // 0000000042D8: D3B14004 1802A954
	v_pk_mul_f32 v[6:7], v[86:87], v[86:87]                    // 0000000042E0: D3B14006 1802AD56
	v_pk_fma_f32 v[4:5], v[4:5], s[78:79], v[8:9]              // 0000000042E8: D3B04004 1C209D04
	v_pk_fma_f32 v[6:7], v[6:7], s[78:79], v[8:9]              // 0000000042F0: D3B04006 1C209D06
	v_pk_mul_f32 v[4:5], v[4:5], v[84:85]                      // 0000000042F8: D3B14004 1802A904
	v_pk_mul_f32 v[6:7], v[6:7], v[86:87]                      // 000000004300: D3B14006 1802AD06
	v_pk_mul_f32 v[4:5], v[4:5], s[60:61]                      // 000000004308: D3B14004 18007904
	v_pk_mul_f32 v[6:7], v[6:7], s[60:61]                      // 000000004310: D3B14006 18007906
	v_exp_f32_e32 v4, v4                                       // 000000004318: 7E084104
	v_exp_f32_e32 v5, v5                                       // 00000000431C: 7E0A4105
	v_exp_f32_e32 v6, v6                                       // 000000004320: 7E0C4106
	v_exp_f32_e32 v7, v7                                       // 000000004324: 7E0E4107
	v_add_f32_e64 v4, v4, 1.0                                  // 000000004328: D1010004 0001E504
	v_add_f32_e64 v5, v5, 1.0                                  // 000000004330: D1010005 0001E505
	v_add_f32_e64 v6, v6, 1.0                                  // 000000004338: D1010006 0001E506
	v_add_f32_e64 v7, v7, 1.0                                  // 000000004340: D1010007 0001E507
	v_rcp_f32_e32 v4, v4                                       // 000000004348: 7E084504
	v_rcp_f32_e32 v5, v5                                       // 00000000434C: 7E0A4505
	v_rcp_f32_e32 v6, v6                                       // 000000004350: 7E0C4506
	v_rcp_f32_e32 v7, v7                                       // 000000004354: 7E0E4507
	v_mul_f32_e32 v84, v84, v4                                 // 000000004358: 0AA80954
	v_mul_f32_e32 v85, v85, v5                                 // 00000000435C: 0AAA0B55
	v_mul_f32_e32 v86, v86, v6                                 // 000000004360: 0AAC0D56
	v_mul_f32_e32 v87, v87, v7                                 // 000000004364: 0AAE0F57
	v_mul_f32_e32 v84, v84, v116                               // 000000004368: 0AA8E954
	v_mul_f32_e32 v85, v85, v117                               // 00000000436C: 0AAAEB55
	v_mul_f32_e32 v86, v86, v118                               // 000000004370: 0AACED56
	v_mul_f32_e32 v87, v87, v119                               // 000000004374: 0AAEEF57
	s_branch label_075F                                        // 000000004378: BF820100

000000000000437c <label_065F>:
	v_mul_f32_e64 v4, -v56, s6                                 // 00000000437C: D1050004 20000D38
	v_mul_f32_e64 v5, -v57, s6                                 // 000000004384: D1050005 20000D39
	v_mul_f32_e64 v6, -v58, s6                                 // 00000000438C: D1050006 20000D3A
	v_mul_f32_e64 v7, -v59, s6                                 // 000000004394: D1050007 20000D3B
	v_exp_f32_e32 v4, v4                                       // 00000000439C: 7E084104
	v_exp_f32_e32 v5, v5                                       // 0000000043A0: 7E0A4105
	v_exp_f32_e32 v6, v6                                       // 0000000043A4: 7E0C4106
	v_exp_f32_e32 v7, v7                                       // 0000000043A8: 7E0E4107
	v_add_f32_e64 v4, v4, 1.0                                  // 0000000043AC: D1010004 0001E504
	v_add_f32_e64 v5, v5, 1.0                                  // 0000000043B4: D1010005 0001E505
	v_add_f32_e64 v6, v6, 1.0                                  // 0000000043BC: D1010006 0001E506
	v_add_f32_e64 v7, v7, 1.0                                  // 0000000043C4: D1010007 0001E507
	v_rcp_f32_e32 v4, v4                                       // 0000000043CC: 7E084504
	v_rcp_f32_e32 v5, v5                                       // 0000000043D0: 7E0A4505
	v_rcp_f32_e32 v6, v6                                       // 0000000043D4: 7E0C4506
	v_rcp_f32_e32 v7, v7                                       // 0000000043D8: 7E0E4507
	v_mul_f32_e32 v56, v56, v4                                 // 0000000043DC: 0A700938
	v_mul_f32_e32 v57, v57, v5                                 // 0000000043E0: 0A720B39
	v_mul_f32_e32 v58, v58, v6                                 // 0000000043E4: 0A740D3A
	v_mul_f32_e32 v59, v59, v7                                 // 0000000043E8: 0A760F3B
	v_mul_f32_e32 v56, v56, v88                                // 0000000043EC: 0A70B138
	v_mul_f32_e32 v57, v57, v89                                // 0000000043F0: 0A72B339
	v_mul_f32_e32 v58, v58, v90                                // 0000000043F4: 0A74B53A
	v_mul_f32_e32 v59, v59, v91                                // 0000000043F8: 0A76B73B
	v_mul_f32_e64 v4, -v60, s6                                 // 0000000043FC: D1050004 20000D3C
	v_mul_f32_e64 v5, -v61, s6                                 // 000000004404: D1050005 20000D3D
	v_mul_f32_e64 v6, -v62, s6                                 // 00000000440C: D1050006 20000D3E
	v_mul_f32_e64 v7, -v63, s6                                 // 000000004414: D1050007 20000D3F
	v_exp_f32_e32 v4, v4                                       // 00000000441C: 7E084104
	v_exp_f32_e32 v5, v5                                       // 000000004420: 7E0A4105
	v_exp_f32_e32 v6, v6                                       // 000000004424: 7E0C4106
	v_exp_f32_e32 v7, v7                                       // 000000004428: 7E0E4107
	v_add_f32_e64 v4, v4, 1.0                                  // 00000000442C: D1010004 0001E504
	v_add_f32_e64 v5, v5, 1.0                                  // 000000004434: D1010005 0001E505
	v_add_f32_e64 v6, v6, 1.0                                  // 00000000443C: D1010006 0001E506
	v_add_f32_e64 v7, v7, 1.0                                  // 000000004444: D1010007 0001E507
	v_rcp_f32_e32 v4, v4                                       // 00000000444C: 7E084504
	v_rcp_f32_e32 v5, v5                                       // 000000004450: 7E0A4505
	v_rcp_f32_e32 v6, v6                                       // 000000004454: 7E0C4506
	v_rcp_f32_e32 v7, v7                                       // 000000004458: 7E0E4507
	v_mul_f32_e32 v60, v60, v4                                 // 00000000445C: 0A78093C
	v_mul_f32_e32 v61, v61, v5                                 // 000000004460: 0A7A0B3D
	v_mul_f32_e32 v62, v62, v6                                 // 000000004464: 0A7C0D3E
	v_mul_f32_e32 v63, v63, v7                                 // 000000004468: 0A7E0F3F
	v_mul_f32_e32 v60, v60, v92                                // 00000000446C: 0A78B93C
	v_mul_f32_e32 v61, v61, v93                                // 000000004470: 0A7ABB3D
	v_mul_f32_e32 v62, v62, v94                                // 000000004474: 0A7CBD3E
	v_mul_f32_e32 v63, v63, v95                                // 000000004478: 0A7EBF3F
	v_mul_f32_e64 v4, -v64, s6                                 // 00000000447C: D1050004 20000D40
	v_mul_f32_e64 v5, -v65, s6                                 // 000000004484: D1050005 20000D41
	v_mul_f32_e64 v6, -v66, s6                                 // 00000000448C: D1050006 20000D42
	v_mul_f32_e64 v7, -v67, s6                                 // 000000004494: D1050007 20000D43
	v_exp_f32_e32 v4, v4                                       // 00000000449C: 7E084104
	v_exp_f32_e32 v5, v5                                       // 0000000044A0: 7E0A4105
	v_exp_f32_e32 v6, v6                                       // 0000000044A4: 7E0C4106
	v_exp_f32_e32 v7, v7                                       // 0000000044A8: 7E0E4107
	v_add_f32_e64 v4, v4, 1.0                                  // 0000000044AC: D1010004 0001E504
	v_add_f32_e64 v5, v5, 1.0                                  // 0000000044B4: D1010005 0001E505
	v_add_f32_e64 v6, v6, 1.0                                  // 0000000044BC: D1010006 0001E506
	v_add_f32_e64 v7, v7, 1.0                                  // 0000000044C4: D1010007 0001E507
	v_rcp_f32_e32 v4, v4                                       // 0000000044CC: 7E084504
	v_rcp_f32_e32 v5, v5                                       // 0000000044D0: 7E0A4505
	v_rcp_f32_e32 v6, v6                                       // 0000000044D4: 7E0C4506
	v_rcp_f32_e32 v7, v7                                       // 0000000044D8: 7E0E4507
	v_mul_f32_e32 v64, v64, v4                                 // 0000000044DC: 0A800940
	v_mul_f32_e32 v65, v65, v5                                 // 0000000044E0: 0A820B41
	v_mul_f32_e32 v66, v66, v6                                 // 0000000044E4: 0A840D42
	v_mul_f32_e32 v67, v67, v7                                 // 0000000044E8: 0A860F43
	v_mul_f32_e32 v64, v64, v96                                // 0000000044EC: 0A80C140
	v_mul_f32_e32 v65, v65, v97                                // 0000000044F0: 0A82C341
	v_mul_f32_e32 v66, v66, v98                                // 0000000044F4: 0A84C542
	v_mul_f32_e32 v67, v67, v99                                // 0000000044F8: 0A86C743
	v_mul_f32_e64 v4, -v68, s6                                 // 0000000044FC: D1050004 20000D44
	v_mul_f32_e64 v5, -v69, s6                                 // 000000004504: D1050005 20000D45
	v_mul_f32_e64 v6, -v70, s6                                 // 00000000450C: D1050006 20000D46
	v_mul_f32_e64 v7, -v71, s6                                 // 000000004514: D1050007 20000D47
	v_exp_f32_e32 v4, v4                                       // 00000000451C: 7E084104
	v_exp_f32_e32 v5, v5                                       // 000000004520: 7E0A4105
	v_exp_f32_e32 v6, v6                                       // 000000004524: 7E0C4106
	v_exp_f32_e32 v7, v7                                       // 000000004528: 7E0E4107
	v_add_f32_e64 v4, v4, 1.0                                  // 00000000452C: D1010004 0001E504
	v_add_f32_e64 v5, v5, 1.0                                  // 000000004534: D1010005 0001E505
	v_add_f32_e64 v6, v6, 1.0                                  // 00000000453C: D1010006 0001E506
	v_add_f32_e64 v7, v7, 1.0                                  // 000000004544: D1010007 0001E507
	v_rcp_f32_e32 v4, v4                                       // 00000000454C: 7E084504
	v_rcp_f32_e32 v5, v5                                       // 000000004550: 7E0A4505
	v_rcp_f32_e32 v6, v6                                       // 000000004554: 7E0C4506
	v_rcp_f32_e32 v7, v7                                       // 000000004558: 7E0E4507
	v_mul_f32_e32 v68, v68, v4                                 // 00000000455C: 0A880944
	v_mul_f32_e32 v69, v69, v5                                 // 000000004560: 0A8A0B45
	v_mul_f32_e32 v70, v70, v6                                 // 000000004564: 0A8C0D46
	v_mul_f32_e32 v71, v71, v7                                 // 000000004568: 0A8E0F47
	v_mul_f32_e32 v68, v68, v100                               // 00000000456C: 0A88C944
	v_mul_f32_e32 v69, v69, v101                               // 000000004570: 0A8ACB45
	v_mul_f32_e32 v70, v70, v102                               // 000000004574: 0A8CCD46
	v_mul_f32_e32 v71, v71, v103                               // 000000004578: 0A8ECF47
	v_mul_f32_e64 v4, -v72, s6                                 // 00000000457C: D1050004 20000D48
	v_mul_f32_e64 v5, -v73, s6                                 // 000000004584: D1050005 20000D49
	v_mul_f32_e64 v6, -v74, s6                                 // 00000000458C: D1050006 20000D4A
	v_mul_f32_e64 v7, -v75, s6                                 // 000000004594: D1050007 20000D4B
	v_exp_f32_e32 v4, v4                                       // 00000000459C: 7E084104
	v_exp_f32_e32 v5, v5                                       // 0000000045A0: 7E0A4105
	v_exp_f32_e32 v6, v6                                       // 0000000045A4: 7E0C4106
	v_exp_f32_e32 v7, v7                                       // 0000000045A8: 7E0E4107
	v_add_f32_e64 v4, v4, 1.0                                  // 0000000045AC: D1010004 0001E504
	v_add_f32_e64 v5, v5, 1.0                                  // 0000000045B4: D1010005 0001E505
	v_add_f32_e64 v6, v6, 1.0                                  // 0000000045BC: D1010006 0001E506
	v_add_f32_e64 v7, v7, 1.0                                  // 0000000045C4: D1010007 0001E507
	v_rcp_f32_e32 v4, v4                                       // 0000000045CC: 7E084504
	v_rcp_f32_e32 v5, v5                                       // 0000000045D0: 7E0A4505
	v_rcp_f32_e32 v6, v6                                       // 0000000045D4: 7E0C4506
	v_rcp_f32_e32 v7, v7                                       // 0000000045D8: 7E0E4507
	v_mul_f32_e32 v72, v72, v4                                 // 0000000045DC: 0A900948
	v_mul_f32_e32 v73, v73, v5                                 // 0000000045E0: 0A920B49
	v_mul_f32_e32 v74, v74, v6                                 // 0000000045E4: 0A940D4A
	v_mul_f32_e32 v75, v75, v7                                 // 0000000045E8: 0A960F4B
	v_mul_f32_e32 v72, v72, v104                               // 0000000045EC: 0A90D148
	v_mul_f32_e32 v73, v73, v105                               // 0000000045F0: 0A92D349
	v_mul_f32_e32 v74, v74, v106                               // 0000000045F4: 0A94D54A
	v_mul_f32_e32 v75, v75, v107                               // 0000000045F8: 0A96D74B
	v_mul_f32_e64 v4, -v76, s6                                 // 0000000045FC: D1050004 20000D4C
	v_mul_f32_e64 v5, -v77, s6                                 // 000000004604: D1050005 20000D4D
	v_mul_f32_e64 v6, -v78, s6                                 // 00000000460C: D1050006 20000D4E
	v_mul_f32_e64 v7, -v79, s6                                 // 000000004614: D1050007 20000D4F
	v_exp_f32_e32 v4, v4                                       // 00000000461C: 7E084104
	v_exp_f32_e32 v5, v5                                       // 000000004620: 7E0A4105
	v_exp_f32_e32 v6, v6                                       // 000000004624: 7E0C4106
	v_exp_f32_e32 v7, v7                                       // 000000004628: 7E0E4107
	v_add_f32_e64 v4, v4, 1.0                                  // 00000000462C: D1010004 0001E504
	v_add_f32_e64 v5, v5, 1.0                                  // 000000004634: D1010005 0001E505
	v_add_f32_e64 v6, v6, 1.0                                  // 00000000463C: D1010006 0001E506
	v_add_f32_e64 v7, v7, 1.0                                  // 000000004644: D1010007 0001E507
	v_rcp_f32_e32 v4, v4                                       // 00000000464C: 7E084504
	v_rcp_f32_e32 v5, v5                                       // 000000004650: 7E0A4505
	v_rcp_f32_e32 v6, v6                                       // 000000004654: 7E0C4506
	v_rcp_f32_e32 v7, v7                                       // 000000004658: 7E0E4507
	v_mul_f32_e32 v76, v76, v4                                 // 00000000465C: 0A98094C
	v_mul_f32_e32 v77, v77, v5                                 // 000000004660: 0A9A0B4D
	v_mul_f32_e32 v78, v78, v6                                 // 000000004664: 0A9C0D4E
	v_mul_f32_e32 v79, v79, v7                                 // 000000004668: 0A9E0F4F
	v_mul_f32_e32 v76, v76, v108                               // 00000000466C: 0A98D94C
	v_mul_f32_e32 v77, v77, v109                               // 000000004670: 0A9ADB4D
	v_mul_f32_e32 v78, v78, v110                               // 000000004674: 0A9CDD4E
	v_mul_f32_e32 v79, v79, v111                               // 000000004678: 0A9EDF4F
	v_mul_f32_e64 v4, -v80, s6                                 // 00000000467C: D1050004 20000D50
	v_mul_f32_e64 v5, -v81, s6                                 // 000000004684: D1050005 20000D51
	v_mul_f32_e64 v6, -v82, s6                                 // 00000000468C: D1050006 20000D52
	v_mul_f32_e64 v7, -v83, s6                                 // 000000004694: D1050007 20000D53
	v_exp_f32_e32 v4, v4                                       // 00000000469C: 7E084104
	v_exp_f32_e32 v5, v5                                       // 0000000046A0: 7E0A4105
	v_exp_f32_e32 v6, v6                                       // 0000000046A4: 7E0C4106
	v_exp_f32_e32 v7, v7                                       // 0000000046A8: 7E0E4107
	v_add_f32_e64 v4, v4, 1.0                                  // 0000000046AC: D1010004 0001E504
	v_add_f32_e64 v5, v5, 1.0                                  // 0000000046B4: D1010005 0001E505
	v_add_f32_e64 v6, v6, 1.0                                  // 0000000046BC: D1010006 0001E506
	v_add_f32_e64 v7, v7, 1.0                                  // 0000000046C4: D1010007 0001E507
	v_rcp_f32_e32 v4, v4                                       // 0000000046CC: 7E084504
	v_rcp_f32_e32 v5, v5                                       // 0000000046D0: 7E0A4505
	v_rcp_f32_e32 v6, v6                                       // 0000000046D4: 7E0C4506
	v_rcp_f32_e32 v7, v7                                       // 0000000046D8: 7E0E4507
	v_mul_f32_e32 v80, v80, v4                                 // 0000000046DC: 0AA00950
	v_mul_f32_e32 v81, v81, v5                                 // 0000000046E0: 0AA20B51
	v_mul_f32_e32 v82, v82, v6                                 // 0000000046E4: 0AA40D52
	v_mul_f32_e32 v83, v83, v7                                 // 0000000046E8: 0AA60F53
	v_mul_f32_e32 v80, v80, v112                               // 0000000046EC: 0AA0E150
	v_mul_f32_e32 v81, v81, v113                               // 0000000046F0: 0AA2E351
	v_mul_f32_e32 v82, v82, v114                               // 0000000046F4: 0AA4E552
	v_mul_f32_e32 v83, v83, v115                               // 0000000046F8: 0AA6E753
	v_mul_f32_e64 v4, -v84, s6                                 // 0000000046FC: D1050004 20000D54
	v_mul_f32_e64 v5, -v85, s6                                 // 000000004704: D1050005 20000D55
	v_mul_f32_e64 v6, -v86, s6                                 // 00000000470C: D1050006 20000D56
	v_mul_f32_e64 v7, -v87, s6                                 // 000000004714: D1050007 20000D57
	v_exp_f32_e32 v4, v4                                       // 00000000471C: 7E084104
	v_exp_f32_e32 v5, v5                                       // 000000004720: 7E0A4105
	v_exp_f32_e32 v6, v6                                       // 000000004724: 7E0C4106
	v_exp_f32_e32 v7, v7                                       // 000000004728: 7E0E4107
	v_add_f32_e64 v4, v4, 1.0                                  // 00000000472C: D1010004 0001E504
	v_add_f32_e64 v5, v5, 1.0                                  // 000000004734: D1010005 0001E505
	v_add_f32_e64 v6, v6, 1.0                                  // 00000000473C: D1010006 0001E506
	v_add_f32_e64 v7, v7, 1.0                                  // 000000004744: D1010007 0001E507
	v_rcp_f32_e32 v4, v4                                       // 00000000474C: 7E084504
	v_rcp_f32_e32 v5, v5                                       // 000000004750: 7E0A4505
	v_rcp_f32_e32 v6, v6                                       // 000000004754: 7E0C4506
	v_rcp_f32_e32 v7, v7                                       // 000000004758: 7E0E4507
	v_mul_f32_e32 v84, v84, v4                                 // 00000000475C: 0AA80954
	v_mul_f32_e32 v85, v85, v5                                 // 000000004760: 0AAA0B55
	v_mul_f32_e32 v86, v86, v6                                 // 000000004764: 0AAC0D56
	v_mul_f32_e32 v87, v87, v7                                 // 000000004768: 0AAE0F57
	v_mul_f32_e32 v84, v84, v116                               // 00000000476C: 0AA8E954
	v_mul_f32_e32 v85, v85, v117                               // 000000004770: 0AAAEB55
	v_mul_f32_e32 v86, v86, v118                               // 000000004774: 0AACED56
	v_mul_f32_e32 v87, v87, v119                               // 000000004778: 0AAEEF57

000000000000477c <label_075F>:
	v_cmp_u_f32_e64 s[46:47], v56, v56                         // 00000000477C: D048002E 00027138
	v_add3_u32 v16, v56, v19, 1                                // 000000004784: D1FF0010 02062738
	v_cndmask_b32_e64 v4, v16, v18, s[46:47]                   // 00000000478C: D1000004 00BA2510
	v_cmp_u_f32_e64 s[46:47], v57, v57                         // 000000004794: D048002E 00027339
	v_add3_u32 v16, v57, v19, 1                                // 00000000479C: D1FF0010 02062739
	v_cndmask_b32_e64 v5, v16, v18, s[46:47]                   // 0000000047A4: D1000005 00BA2510
	v_perm_b32 v56, v5, v4, s52                                // 0000000047AC: D1ED0038 00D20905
	v_cmp_u_f32_e64 s[46:47], v58, v58                         // 0000000047B4: D048002E 0002753A
	v_add3_u32 v16, v58, v19, 1                                // 0000000047BC: D1FF0010 0206273A
	v_cndmask_b32_e64 v4, v16, v18, s[46:47]                   // 0000000047C4: D1000004 00BA2510
	v_cmp_u_f32_e64 s[46:47], v59, v59                         // 0000000047CC: D048002E 0002773B
	v_add3_u32 v16, v59, v19, 1                                // 0000000047D4: D1FF0010 0206273B
	v_cndmask_b32_e64 v5, v16, v18, s[46:47]                   // 0000000047DC: D1000005 00BA2510
	v_perm_b32 v57, v5, v4, s52                                // 0000000047E4: D1ED0039 00D20905
	v_cmp_u_f32_e64 s[46:47], v60, v60                         // 0000000047EC: D048002E 0002793C
	v_add3_u32 v16, v60, v19, 1                                // 0000000047F4: D1FF0010 0206273C
	v_cndmask_b32_e64 v4, v16, v18, s[46:47]                   // 0000000047FC: D1000004 00BA2510
	v_cmp_u_f32_e64 s[46:47], v61, v61                         // 000000004804: D048002E 00027B3D
	v_add3_u32 v16, v61, v19, 1                                // 00000000480C: D1FF0010 0206273D
	v_cndmask_b32_e64 v5, v16, v18, s[46:47]                   // 000000004814: D1000005 00BA2510
	v_perm_b32 v58, v5, v4, s52                                // 00000000481C: D1ED003A 00D20905
	v_cmp_u_f32_e64 s[46:47], v62, v62                         // 000000004824: D048002E 00027D3E
	v_add3_u32 v16, v62, v19, 1                                // 00000000482C: D1FF0010 0206273E
	v_cndmask_b32_e64 v4, v16, v18, s[46:47]                   // 000000004834: D1000004 00BA2510
	v_cmp_u_f32_e64 s[46:47], v63, v63                         // 00000000483C: D048002E 00027F3F
	v_add3_u32 v16, v63, v19, 1                                // 000000004844: D1FF0010 0206273F
	v_cndmask_b32_e64 v5, v16, v18, s[46:47]                   // 00000000484C: D1000005 00BA2510
	v_perm_b32 v59, v5, v4, s52                                // 000000004854: D1ED003B 00D20905
	v_cmp_u_f32_e64 s[46:47], v64, v64                         // 00000000485C: D048002E 00028140
	v_add3_u32 v16, v64, v19, 1                                // 000000004864: D1FF0010 02062740
	v_cndmask_b32_e64 v4, v16, v18, s[46:47]                   // 00000000486C: D1000004 00BA2510
	v_cmp_u_f32_e64 s[46:47], v65, v65                         // 000000004874: D048002E 00028341
	v_add3_u32 v16, v65, v19, 1                                // 00000000487C: D1FF0010 02062741
	v_cndmask_b32_e64 v5, v16, v18, s[46:47]                   // 000000004884: D1000005 00BA2510
	v_perm_b32 v60, v5, v4, s52                                // 00000000488C: D1ED003C 00D20905
	v_cmp_u_f32_e64 s[46:47], v66, v66                         // 000000004894: D048002E 00028542
	v_add3_u32 v16, v66, v19, 1                                // 00000000489C: D1FF0010 02062742
	v_cndmask_b32_e64 v4, v16, v18, s[46:47]                   // 0000000048A4: D1000004 00BA2510
	v_cmp_u_f32_e64 s[46:47], v67, v67                         // 0000000048AC: D048002E 00028743
	v_add3_u32 v16, v67, v19, 1                                // 0000000048B4: D1FF0010 02062743
	v_cndmask_b32_e64 v5, v16, v18, s[46:47]                   // 0000000048BC: D1000005 00BA2510
	v_perm_b32 v61, v5, v4, s52                                // 0000000048C4: D1ED003D 00D20905
	v_cmp_u_f32_e64 s[46:47], v68, v68                         // 0000000048CC: D048002E 00028944
	v_add3_u32 v16, v68, v19, 1                                // 0000000048D4: D1FF0010 02062744
	v_cndmask_b32_e64 v4, v16, v18, s[46:47]                   // 0000000048DC: D1000004 00BA2510
	v_cmp_u_f32_e64 s[46:47], v69, v69                         // 0000000048E4: D048002E 00028B45
	v_add3_u32 v16, v69, v19, 1                                // 0000000048EC: D1FF0010 02062745
	v_cndmask_b32_e64 v5, v16, v18, s[46:47]                   // 0000000048F4: D1000005 00BA2510
	v_perm_b32 v62, v5, v4, s52                                // 0000000048FC: D1ED003E 00D20905
	v_cmp_u_f32_e64 s[46:47], v70, v70                         // 000000004904: D048002E 00028D46
	v_add3_u32 v16, v70, v19, 1                                // 00000000490C: D1FF0010 02062746
	v_cndmask_b32_e64 v4, v16, v18, s[46:47]                   // 000000004914: D1000004 00BA2510
	v_cmp_u_f32_e64 s[46:47], v71, v71                         // 00000000491C: D048002E 00028F47
	v_add3_u32 v16, v71, v19, 1                                // 000000004924: D1FF0010 02062747
	v_cndmask_b32_e64 v5, v16, v18, s[46:47]                   // 00000000492C: D1000005 00BA2510
	v_perm_b32 v63, v5, v4, s52                                // 000000004934: D1ED003F 00D20905
	v_cmp_u_f32_e64 s[46:47], v72, v72                         // 00000000493C: D048002E 00029148
	v_add3_u32 v16, v72, v19, 1                                // 000000004944: D1FF0010 02062748
	v_cndmask_b32_e64 v4, v16, v18, s[46:47]                   // 00000000494C: D1000004 00BA2510
	v_cmp_u_f32_e64 s[46:47], v73, v73                         // 000000004954: D048002E 00029349
	v_add3_u32 v16, v73, v19, 1                                // 00000000495C: D1FF0010 02062749
	v_cndmask_b32_e64 v5, v16, v18, s[46:47]                   // 000000004964: D1000005 00BA2510
	v_perm_b32 v64, v5, v4, s52                                // 00000000496C: D1ED0040 00D20905
	v_cmp_u_f32_e64 s[46:47], v74, v74                         // 000000004974: D048002E 0002954A
	v_add3_u32 v16, v74, v19, 1                                // 00000000497C: D1FF0010 0206274A
	v_cndmask_b32_e64 v4, v16, v18, s[46:47]                   // 000000004984: D1000004 00BA2510
	v_cmp_u_f32_e64 s[46:47], v75, v75                         // 00000000498C: D048002E 0002974B
	v_add3_u32 v16, v75, v19, 1                                // 000000004994: D1FF0010 0206274B
	v_cndmask_b32_e64 v5, v16, v18, s[46:47]                   // 00000000499C: D1000005 00BA2510
	v_perm_b32 v65, v5, v4, s52                                // 0000000049A4: D1ED0041 00D20905
	v_cmp_u_f32_e64 s[46:47], v76, v76                         // 0000000049AC: D048002E 0002994C
	v_add3_u32 v16, v76, v19, 1                                // 0000000049B4: D1FF0010 0206274C
	v_cndmask_b32_e64 v4, v16, v18, s[46:47]                   // 0000000049BC: D1000004 00BA2510
	v_cmp_u_f32_e64 s[46:47], v77, v77                         // 0000000049C4: D048002E 00029B4D
	v_add3_u32 v16, v77, v19, 1                                // 0000000049CC: D1FF0010 0206274D
	v_cndmask_b32_e64 v5, v16, v18, s[46:47]                   // 0000000049D4: D1000005 00BA2510
	v_perm_b32 v66, v5, v4, s52                                // 0000000049DC: D1ED0042 00D20905
	v_cmp_u_f32_e64 s[46:47], v78, v78                         // 0000000049E4: D048002E 00029D4E
	v_add3_u32 v16, v78, v19, 1                                // 0000000049EC: D1FF0010 0206274E
	v_cndmask_b32_e64 v4, v16, v18, s[46:47]                   // 0000000049F4: D1000004 00BA2510
	v_cmp_u_f32_e64 s[46:47], v79, v79                         // 0000000049FC: D048002E 00029F4F
	v_add3_u32 v16, v79, v19, 1                                // 000000004A04: D1FF0010 0206274F
	v_cndmask_b32_e64 v5, v16, v18, s[46:47]                   // 000000004A0C: D1000005 00BA2510
	v_perm_b32 v67, v5, v4, s52                                // 000000004A14: D1ED0043 00D20905
	v_cmp_u_f32_e64 s[46:47], v80, v80                         // 000000004A1C: D048002E 0002A150
	v_add3_u32 v16, v80, v19, 1                                // 000000004A24: D1FF0010 02062750
	v_cndmask_b32_e64 v4, v16, v18, s[46:47]                   // 000000004A2C: D1000004 00BA2510
	v_cmp_u_f32_e64 s[46:47], v81, v81                         // 000000004A34: D048002E 0002A351
	v_add3_u32 v16, v81, v19, 1                                // 000000004A3C: D1FF0010 02062751
	v_cndmask_b32_e64 v5, v16, v18, s[46:47]                   // 000000004A44: D1000005 00BA2510
	v_perm_b32 v68, v5, v4, s52                                // 000000004A4C: D1ED0044 00D20905
	v_cmp_u_f32_e64 s[46:47], v82, v82                         // 000000004A54: D048002E 0002A552
	v_add3_u32 v16, v82, v19, 1                                // 000000004A5C: D1FF0010 02062752
	v_cndmask_b32_e64 v4, v16, v18, s[46:47]                   // 000000004A64: D1000004 00BA2510
	v_cmp_u_f32_e64 s[46:47], v83, v83                         // 000000004A6C: D048002E 0002A753
	v_add3_u32 v16, v83, v19, 1                                // 000000004A74: D1FF0010 02062753
	v_cndmask_b32_e64 v5, v16, v18, s[46:47]                   // 000000004A7C: D1000005 00BA2510
	v_perm_b32 v69, v5, v4, s52                                // 000000004A84: D1ED0045 00D20905
	v_cmp_u_f32_e64 s[46:47], v84, v84                         // 000000004A8C: D048002E 0002A954
	v_add3_u32 v16, v84, v19, 1                                // 000000004A94: D1FF0010 02062754
	v_cndmask_b32_e64 v4, v16, v18, s[46:47]                   // 000000004A9C: D1000004 00BA2510
	v_cmp_u_f32_e64 s[46:47], v85, v85                         // 000000004AA4: D048002E 0002AB55
	v_add3_u32 v16, v85, v19, 1                                // 000000004AAC: D1FF0010 02062755
	v_cndmask_b32_e64 v5, v16, v18, s[46:47]                   // 000000004AB4: D1000005 00BA2510
	v_perm_b32 v70, v5, v4, s52                                // 000000004ABC: D1ED0046 00D20905
	v_cmp_u_f32_e64 s[46:47], v86, v86                         // 000000004AC4: D048002E 0002AD56
	v_add3_u32 v16, v86, v19, 1                                // 000000004ACC: D1FF0010 02062756
	v_cndmask_b32_e64 v4, v16, v18, s[46:47]                   // 000000004AD4: D1000004 00BA2510
	v_cmp_u_f32_e64 s[46:47], v87, v87                         // 000000004ADC: D048002E 0002AF57
	v_add3_u32 v16, v87, v19, 1                                // 000000004AE4: D1FF0010 02062757
	v_cndmask_b32_e64 v5, v16, v18, s[46:47]                   // 000000004AEC: D1000005 00BA2510
	v_perm_b32 v71, v5, v4, s52                                // 000000004AF4: D1ED0047 00D20905
	ds_write_b64 v20, v[56:57]                                 // 000000004AFC: D89A0000 00003814
	ds_write_b64 v20, v[58:59] offset:4352                     // 000000004B04: D89A1100 00003A14
	ds_write_b64 v20, v[60:61] offset:8704                     // 000000004B0C: D89A2200 00003C14
	ds_write_b64 v20, v[62:63] offset:13056                    // 000000004B14: D89A3300 00003E14
	ds_write_b64 v20, v[64:65] offset:2176                     // 000000004B1C: D89A0880 00004014
	ds_write_b64 v20, v[66:67] offset:6528                     // 000000004B24: D89A1980 00004214
	ds_write_b64 v20, v[68:69] offset:10880                    // 000000004B2C: D89A2A80 00004414
	ds_write_b64 v20, v[70:71] offset:15232                    // 000000004B34: D89A3B80 00004614
	v_lshrrev_b32_e32 v4, 5, v0                                // 000000004B3C: 20080085
	v_xor_b32_e32 v5, 1, v4                                    // 000000004B40: 2A0A0881
	s_mul_i32 s60, s65, 2                                      // 000000004B44: 923C8241
	s_cmp_eq_u32 s88, 0                                        // 000000004B48: BF068058
	s_cselect_b32 s61, 1, 4                                    // 000000004B4C: 853D8481
	s_mul_i32 s60, s61, s60                                    // 000000004B50: 923C3C3D
	v_readlane_b32 s82, v3, 0                                  // 000000004B54: D2890052 00010103
	s_lshr_b32 s61, s82, 24                                    // 000000004B5C: 8F3D9852
	s_and_b32 s82, s82, 0xffffff                               // 000000004B60: 8652FF52 00FFFFFF
	s_mul_i32 s82, s82, s71                                    // 000000004B68: 92524752
	s_mul_i32 s61, s60, s61                                    // 000000004B6C: 923D3D3C
	s_add_u32 s82, s82, s61                                    // 000000004B70: 80523D52
	v_mul_lo_u32 v6, v5, s82                                   // 000000004B74: D2850006 0000A505
	v_readlane_b32 s82, v3, 1                                  // 000000004B7C: D2890052 00010303
	s_lshr_b32 s61, s82, 24                                    // 000000004B84: 8F3D9852
	s_and_b32 s82, s82, 0xffffff                               // 000000004B88: 8652FF52 00FFFFFF
	s_mul_i32 s82, s82, s71                                    // 000000004B90: 92524752
	s_mul_i32 s61, s60, s61                                    // 000000004B94: 923D3D3C
	s_add_u32 s82, s82, s61                                    // 000000004B98: 80523D52
	v_mul_lo_u32 v7, v4, s82                                   // 000000004B9C: D2850007 0000A504
	v_add_u32_e32 v44, v6, v7                                  // 000000004BA4: 68580F06
	v_readlane_b32 s82, v3, 2                                  // 000000004BA8: D2890052 00010503
	s_lshr_b32 s61, s82, 24                                    // 000000004BB0: 8F3D9852
	s_and_b32 s82, s82, 0xffffff                               // 000000004BB4: 8652FF52 00FFFFFF
	s_mul_i32 s82, s82, s71                                    // 000000004BBC: 92524752
	s_mul_i32 s61, s60, s61                                    // 000000004BC0: 923D3D3C
	s_add_u32 s82, s82, s61                                    // 000000004BC4: 80523D52
	v_mul_lo_u32 v6, v5, s82                                   // 000000004BC8: D2850006 0000A505
	v_readlane_b32 s82, v3, 3                                  // 000000004BD0: D2890052 00010703
	s_lshr_b32 s61, s82, 24                                    // 000000004BD8: 8F3D9852
	s_and_b32 s82, s82, 0xffffff                               // 000000004BDC: 8652FF52 00FFFFFF
	s_mul_i32 s82, s82, s71                                    // 000000004BE4: 92524752
	s_mul_i32 s61, s60, s61                                    // 000000004BE8: 923D3D3C
	s_add_u32 s82, s82, s61                                    // 000000004BEC: 80523D52
	v_mul_lo_u32 v7, v4, s82                                   // 000000004BF0: D2850007 0000A504
	v_add_u32_e32 v45, v6, v7                                  // 000000004BF8: 685A0F06
	v_readlane_b32 s82, v3, 4                                  // 000000004BFC: D2890052 00010903
	s_lshr_b32 s61, s82, 24                                    // 000000004C04: 8F3D9852
	s_and_b32 s82, s82, 0xffffff                               // 000000004C08: 8652FF52 00FFFFFF
	s_mul_i32 s82, s82, s71                                    // 000000004C10: 92524752
	s_mul_i32 s61, s60, s61                                    // 000000004C14: 923D3D3C
	s_add_u32 s82, s82, s61                                    // 000000004C18: 80523D52
	v_mul_lo_u32 v6, v5, s82                                   // 000000004C1C: D2850006 0000A505
	v_readlane_b32 s82, v3, 5                                  // 000000004C24: D2890052 00010B03
	s_lshr_b32 s61, s82, 24                                    // 000000004C2C: 8F3D9852
	s_and_b32 s82, s82, 0xffffff                               // 000000004C30: 8652FF52 00FFFFFF
	s_mul_i32 s82, s82, s71                                    // 000000004C38: 92524752
	s_mul_i32 s61, s60, s61                                    // 000000004C3C: 923D3D3C
	s_add_u32 s82, s82, s61                                    // 000000004C40: 80523D52
	v_mul_lo_u32 v7, v4, s82                                   // 000000004C44: D2850007 0000A504
	v_add_u32_e32 v46, v6, v7                                  // 000000004C4C: 685C0F06
	v_readlane_b32 s82, v3, 6                                  // 000000004C50: D2890052 00010D03
	s_lshr_b32 s61, s82, 24                                    // 000000004C58: 8F3D9852
	s_and_b32 s82, s82, 0xffffff                               // 000000004C5C: 8652FF52 00FFFFFF
	s_mul_i32 s82, s82, s71                                    // 000000004C64: 92524752
	s_mul_i32 s61, s60, s61                                    // 000000004C68: 923D3D3C
	s_add_u32 s82, s82, s61                                    // 000000004C6C: 80523D52
	v_mul_lo_u32 v6, v5, s82                                   // 000000004C70: D2850006 0000A505
	v_readlane_b32 s82, v3, 7                                  // 000000004C78: D2890052 00010F03
	s_lshr_b32 s61, s82, 24                                    // 000000004C80: 8F3D9852
	s_and_b32 s82, s82, 0xffffff                               // 000000004C84: 8652FF52 00FFFFFF
	s_mul_i32 s82, s82, s71                                    // 000000004C8C: 92524752
	s_mul_i32 s61, s60, s61                                    // 000000004C90: 923D3D3C
	s_add_u32 s82, s82, s61                                    // 000000004C94: 80523D52
	v_mul_lo_u32 v7, v4, s82                                   // 000000004C98: D2850007 0000A504
	v_add_u32_e32 v47, v6, v7                                  // 000000004CA0: 685E0F06
	v_readlane_b32 s82, v3, 8                                  // 000000004CA4: D2890052 00011103
	s_lshr_b32 s61, s82, 24                                    // 000000004CAC: 8F3D9852
	s_and_b32 s82, s82, 0xffffff                               // 000000004CB0: 8652FF52 00FFFFFF
	s_mul_i32 s82, s82, s71                                    // 000000004CB8: 92524752
	s_mul_i32 s61, s60, s61                                    // 000000004CBC: 923D3D3C
	s_add_u32 s82, s82, s61                                    // 000000004CC0: 80523D52
	v_mul_lo_u32 v6, v5, s82                                   // 000000004CC4: D2850006 0000A505
	v_readlane_b32 s82, v3, 9                                  // 000000004CCC: D2890052 00011303
	s_lshr_b32 s61, s82, 24                                    // 000000004CD4: 8F3D9852
	s_and_b32 s82, s82, 0xffffff                               // 000000004CD8: 8652FF52 00FFFFFF
	s_mul_i32 s82, s82, s71                                    // 000000004CE0: 92524752
	s_mul_i32 s61, s60, s61                                    // 000000004CE4: 923D3D3C
	s_add_u32 s82, s82, s61                                    // 000000004CE8: 80523D52
	v_mul_lo_u32 v7, v4, s82                                   // 000000004CEC: D2850007 0000A504
	v_add_u32_e32 v48, v6, v7                                  // 000000004CF4: 68600F06
	v_readlane_b32 s82, v3, 10                                 // 000000004CF8: D2890052 00011503
	s_lshr_b32 s61, s82, 24                                    // 000000004D00: 8F3D9852
	s_and_b32 s82, s82, 0xffffff                               // 000000004D04: 8652FF52 00FFFFFF
	s_mul_i32 s82, s82, s71                                    // 000000004D0C: 92524752
	s_mul_i32 s61, s60, s61                                    // 000000004D10: 923D3D3C
	s_add_u32 s82, s82, s61                                    // 000000004D14: 80523D52
	v_mul_lo_u32 v6, v5, s82                                   // 000000004D18: D2850006 0000A505
	v_readlane_b32 s82, v3, 11                                 // 000000004D20: D2890052 00011703
	s_lshr_b32 s61, s82, 24                                    // 000000004D28: 8F3D9852
	s_and_b32 s82, s82, 0xffffff                               // 000000004D2C: 8652FF52 00FFFFFF
	s_mul_i32 s82, s82, s71                                    // 000000004D34: 92524752
	s_mul_i32 s61, s60, s61                                    // 000000004D38: 923D3D3C
	s_add_u32 s82, s82, s61                                    // 000000004D3C: 80523D52
	v_mul_lo_u32 v7, v4, s82                                   // 000000004D40: D2850007 0000A504
	v_add_u32_e32 v49, v6, v7                                  // 000000004D48: 68620F06
	v_readlane_b32 s82, v3, 12                                 // 000000004D4C: D2890052 00011903
	s_lshr_b32 s61, s82, 24                                    // 000000004D54: 8F3D9852
	s_and_b32 s82, s82, 0xffffff                               // 000000004D58: 8652FF52 00FFFFFF
	s_mul_i32 s82, s82, s71                                    // 000000004D60: 92524752
	s_mul_i32 s61, s60, s61                                    // 000000004D64: 923D3D3C
	s_add_u32 s82, s82, s61                                    // 000000004D68: 80523D52
	v_mul_lo_u32 v6, v5, s82                                   // 000000004D6C: D2850006 0000A505
	v_readlane_b32 s82, v3, 13                                 // 000000004D74: D2890052 00011B03
	s_lshr_b32 s61, s82, 24                                    // 000000004D7C: 8F3D9852
	s_and_b32 s82, s82, 0xffffff                               // 000000004D80: 8652FF52 00FFFFFF
	s_mul_i32 s82, s82, s71                                    // 000000004D88: 92524752
	s_mul_i32 s61, s60, s61                                    // 000000004D8C: 923D3D3C
	s_add_u32 s82, s82, s61                                    // 000000004D90: 80523D52
	v_mul_lo_u32 v7, v4, s82                                   // 000000004D94: D2850007 0000A504
	v_add_u32_e32 v50, v6, v7                                  // 000000004D9C: 68640F06
	v_readlane_b32 s82, v3, 14                                 // 000000004DA0: D2890052 00011D03
	s_lshr_b32 s61, s82, 24                                    // 000000004DA8: 8F3D9852
	s_and_b32 s82, s82, 0xffffff                               // 000000004DAC: 8652FF52 00FFFFFF
	s_mul_i32 s82, s82, s71                                    // 000000004DB4: 92524752
	s_mul_i32 s61, s60, s61                                    // 000000004DB8: 923D3D3C
	s_add_u32 s82, s82, s61                                    // 000000004DBC: 80523D52
	v_mul_lo_u32 v6, v5, s82                                   // 000000004DC0: D2850006 0000A505
	v_readlane_b32 s82, v3, 15                                 // 000000004DC8: D2890052 00011F03
	s_lshr_b32 s61, s82, 24                                    // 000000004DD0: 8F3D9852
	s_and_b32 s82, s82, 0xffffff                               // 000000004DD4: 8652FF52 00FFFFFF
	s_mul_i32 s82, s82, s71                                    // 000000004DDC: 92524752
	s_mul_i32 s61, s60, s61                                    // 000000004DE0: 923D3D3C
	s_add_u32 s82, s82, s61                                    // 000000004DE4: 80523D52
	v_mul_lo_u32 v7, v4, s82                                   // 000000004DE8: D2850007 0000A504
	v_add_u32_e32 v51, v6, v7                                  // 000000004DF0: 68660F06
	v_and_b32_e32 v4, 31, v0                                   // 000000004DF4: 2608009F
	v_lshrrev_b32_e32 v4, 1, v4                                // 000000004DF8: 20080881
	s_cmp_eq_u32 s88, 0                                        // 000000004DFC: BF068058
	s_cselect_b32 s61, 2, 4                                    // 000000004E00: 853D8482
	v_mul_lo_u32 v4, v4, s61                                   // 000000004E04: D2850004 00007B04
	v_and_b32_e64 v5, v0, 1                                    // 000000004E0C: D1130005 00010300
	v_add_u32_e32 v4, v4, v5                                   // 000000004E14: 68080B04
	v_lshlrev_b32_e32 v4, 2, v4                                // 000000004E18: 24080882
	v_add_u32_e32 v44, v44, v4                                 // 000000004E1C: 6858092C
	v_add_u32_e32 v45, v45, v4                                 // 000000004E20: 685A092D
	v_add_u32_e32 v46, v46, v4                                 // 000000004E24: 685C092E
	v_add_u32_e32 v47, v47, v4                                 // 000000004E28: 685E092F
	v_add_u32_e32 v48, v48, v4                                 // 000000004E2C: 68600930
	v_add_u32_e32 v49, v49, v4                                 // 000000004E30: 68620931
	v_add_u32_e32 v50, v50, v4                                 // 000000004E34: 68640932
	v_add_u32_e32 v51, v51, v4                                 // 000000004E38: 68660933
	s_waitcnt lgkmcnt(0)                                       // 000000004E3C: BF8CC07F
	s_barrier                                                  // 000000004E40: BF8A0000
	ds_read_b32 v56, v21                                       // 000000004E44: D86C0000 38000015
	ds_read_b32 v57, v21 offset:64                             // 000000004E4C: D86C0040 39000015
	ds_read_b32 v58, v21 offset:2176                           // 000000004E54: D86C0880 3A000015
	ds_read_b32 v59, v21 offset:2240                           // 000000004E5C: D86C08C0 3B000015
	ds_read_b32 v60, v21 offset:4352                           // 000000004E64: D86C1100 3C000015
	ds_read_b32 v61, v21 offset:4416                           // 000000004E6C: D86C1140 3D000015
	ds_read_b32 v62, v21 offset:6528                           // 000000004E74: D86C1980 3E000015
	ds_read_b32 v63, v21 offset:6592                           // 000000004E7C: D86C19C0 3F000015
	ds_read_b32 v64, v21 offset:8704                           // 000000004E84: D86C2200 40000015
	ds_read_b32 v65, v21 offset:8768                           // 000000004E8C: D86C2240 41000015
	ds_read_b32 v66, v21 offset:10880                          // 000000004E94: D86C2A80 42000015
	ds_read_b32 v67, v21 offset:10944                          // 000000004E9C: D86C2AC0 43000015
	ds_read_b32 v68, v21 offset:13056                          // 000000004EA4: D86C3300 44000015
	ds_read_b32 v69, v21 offset:13120                          // 000000004EAC: D86C3340 45000015
	ds_read_b32 v70, v21 offset:15232                          // 000000004EB4: D86C3B80 46000015
	ds_read_b32 v71, v21 offset:15296                          // 000000004EBC: D86C3BC0 47000015
	s_waitcnt lgkmcnt(0)                                       // 000000004EC4: BF8CC07F
	s_mov_b32 s36, -1                                          // 000000004EC8: BEA400C1
	s_mov_b32 s37, -1                                          // 000000004ECC: BEA500C1
	v_mov_b32_e32 v7, 0                                        // 000000004ED0: 7E0E0280
	s_or_b32 s9, s9, 0x40000                                   // 000000004ED4: 8709FF09 00040000
	s_mov_b64 exec, s[36:37]                                   // 000000004EDC: BEFE0124
	v_mov_b32_e32 v6, v44                                      // 000000004EE0: 7E0C032C
	s_mov_b64 s[60:61], 0                                      // 000000004EE4: BEBC0180
	v_readlane_b32 s82, v3, 0                                  // 000000004EE8: D2890052 00010103
	s_and_b32 s82, s82, 0xffffff                               // 000000004EF0: 8652FF52 00FFFFFF
	s_cmp_lt_u32 s82, s66                                      // 000000004EF8: BF0A4252
	s_cselect_b32 s20, s36, s60                                // 000000004EFC: 85143C24
	v_readlane_b32 s82, v3, 1                                  // 000000004F00: D2890052 00010303
	s_and_b32 s82, s82, 0xffffff                               // 000000004F08: 8652FF52 00FFFFFF
	s_cmp_lt_u32 s82, s66                                      // 000000004F10: BF0A4252
	s_cselect_b32 s21, s36, s60                                // 000000004F14: 85153C24
	s_mov_b64 exec, s[20:21]                                   // 000000004F18: BEFE0114
	buffer_store_dword v56, v6, s[8:11], 0 offen               // 000000004F1C: E0701000 80023806
	buffer_store_dword v58, v6, s[8:11], 0 offen offset:128    // 000000004F24: E0701080 80023A06
	s_mov_b64 exec, s[36:37]                                   // 000000004F2C: BEFE0124
	v_mov_b32_e32 v6, v45                                      // 000000004F30: 7E0C032D
	s_mov_b64 s[60:61], 0                                      // 000000004F34: BEBC0180
	v_readlane_b32 s82, v3, 2                                  // 000000004F38: D2890052 00010503
	s_and_b32 s82, s82, 0xffffff                               // 000000004F40: 8652FF52 00FFFFFF
	s_cmp_lt_u32 s82, s66                                      // 000000004F48: BF0A4252
	s_cselect_b32 s20, s36, s60                                // 000000004F4C: 85143C24
	v_readlane_b32 s82, v3, 3                                  // 000000004F50: D2890052 00010703
	s_and_b32 s82, s82, 0xffffff                               // 000000004F58: 8652FF52 00FFFFFF
	s_cmp_lt_u32 s82, s66                                      // 000000004F60: BF0A4252
	s_cselect_b32 s21, s36, s60                                // 000000004F64: 85153C24
	s_mov_b64 exec, s[20:21]                                   // 000000004F68: BEFE0114
	buffer_store_dword v57, v6, s[8:11], 0 offen               // 000000004F6C: E0701000 80023906
	buffer_store_dword v59, v6, s[8:11], 0 offen offset:128    // 000000004F74: E0701080 80023B06
	s_mov_b64 exec, s[36:37]                                   // 000000004F7C: BEFE0124
	v_mov_b32_e32 v6, v46                                      // 000000004F80: 7E0C032E
	s_mov_b64 s[60:61], 0                                      // 000000004F84: BEBC0180
	v_readlane_b32 s82, v3, 4                                  // 000000004F88: D2890052 00010903
	s_and_b32 s82, s82, 0xffffff                               // 000000004F90: 8652FF52 00FFFFFF
	s_cmp_lt_u32 s82, s66                                      // 000000004F98: BF0A4252
	s_cselect_b32 s20, s36, s60                                // 000000004F9C: 85143C24
	v_readlane_b32 s82, v3, 5                                  // 000000004FA0: D2890052 00010B03
	s_and_b32 s82, s82, 0xffffff                               // 000000004FA8: 8652FF52 00FFFFFF
	s_cmp_lt_u32 s82, s66                                      // 000000004FB0: BF0A4252
	s_cselect_b32 s21, s36, s60                                // 000000004FB4: 85153C24
	s_mov_b64 exec, s[20:21]                                   // 000000004FB8: BEFE0114
	buffer_store_dword v60, v6, s[8:11], 0 offen               // 000000004FBC: E0701000 80023C06
	buffer_store_dword v62, v6, s[8:11], 0 offen offset:128    // 000000004FC4: E0701080 80023E06
	s_mov_b64 exec, s[36:37]                                   // 000000004FCC: BEFE0124
	v_mov_b32_e32 v6, v47                                      // 000000004FD0: 7E0C032F
	s_mov_b64 s[60:61], 0                                      // 000000004FD4: BEBC0180
	v_readlane_b32 s82, v3, 6                                  // 000000004FD8: D2890052 00010D03
	s_and_b32 s82, s82, 0xffffff                               // 000000004FE0: 8652FF52 00FFFFFF
	s_cmp_lt_u32 s82, s66                                      // 000000004FE8: BF0A4252
	s_cselect_b32 s20, s36, s60                                // 000000004FEC: 85143C24
	v_readlane_b32 s82, v3, 7                                  // 000000004FF0: D2890052 00010F03
	s_and_b32 s82, s82, 0xffffff                               // 000000004FF8: 8652FF52 00FFFFFF
	s_cmp_lt_u32 s82, s66                                      // 000000005000: BF0A4252
	s_cselect_b32 s21, s36, s60                                // 000000005004: 85153C24
	s_mov_b64 exec, s[20:21]                                   // 000000005008: BEFE0114
	buffer_store_dword v61, v6, s[8:11], 0 offen               // 00000000500C: E0701000 80023D06
	buffer_store_dword v63, v6, s[8:11], 0 offen offset:128    // 000000005014: E0701080 80023F06
	s_mov_b64 exec, s[36:37]                                   // 00000000501C: BEFE0124
	v_mov_b32_e32 v6, v48                                      // 000000005020: 7E0C0330
	s_mov_b64 s[60:61], 0                                      // 000000005024: BEBC0180
	v_readlane_b32 s82, v3, 8                                  // 000000005028: D2890052 00011103
	s_and_b32 s82, s82, 0xffffff                               // 000000005030: 8652FF52 00FFFFFF
	s_cmp_lt_u32 s82, s66                                      // 000000005038: BF0A4252
	s_cselect_b32 s20, s36, s60                                // 00000000503C: 85143C24
	v_readlane_b32 s82, v3, 9                                  // 000000005040: D2890052 00011303
	s_and_b32 s82, s82, 0xffffff                               // 000000005048: 8652FF52 00FFFFFF
	s_cmp_lt_u32 s82, s66                                      // 000000005050: BF0A4252
	s_cselect_b32 s21, s36, s60                                // 000000005054: 85153C24
	s_mov_b64 exec, s[20:21]                                   // 000000005058: BEFE0114
	buffer_store_dword v64, v6, s[8:11], 0 offen               // 00000000505C: E0701000 80024006
	buffer_store_dword v66, v6, s[8:11], 0 offen offset:128    // 000000005064: E0701080 80024206
	s_mov_b64 exec, s[36:37]                                   // 00000000506C: BEFE0124
	v_mov_b32_e32 v6, v49                                      // 000000005070: 7E0C0331
	s_mov_b64 s[60:61], 0                                      // 000000005074: BEBC0180
	v_readlane_b32 s82, v3, 10                                 // 000000005078: D2890052 00011503
	s_and_b32 s82, s82, 0xffffff                               // 000000005080: 8652FF52 00FFFFFF
	s_cmp_lt_u32 s82, s66                                      // 000000005088: BF0A4252
	s_cselect_b32 s20, s36, s60                                // 00000000508C: 85143C24
	v_readlane_b32 s82, v3, 11                                 // 000000005090: D2890052 00011703
	s_and_b32 s82, s82, 0xffffff                               // 000000005098: 8652FF52 00FFFFFF
	s_cmp_lt_u32 s82, s66                                      // 0000000050A0: BF0A4252
	s_cselect_b32 s21, s36, s60                                // 0000000050A4: 85153C24
	s_mov_b64 exec, s[20:21]                                   // 0000000050A8: BEFE0114
	buffer_store_dword v65, v6, s[8:11], 0 offen               // 0000000050AC: E0701000 80024106
	buffer_store_dword v67, v6, s[8:11], 0 offen offset:128    // 0000000050B4: E0701080 80024306
	s_mov_b64 exec, s[36:37]                                   // 0000000050BC: BEFE0124
	v_mov_b32_e32 v6, v50                                      // 0000000050C0: 7E0C0332
	s_mov_b64 s[60:61], 0                                      // 0000000050C4: BEBC0180
	v_readlane_b32 s82, v3, 12                                 // 0000000050C8: D2890052 00011903
	s_and_b32 s82, s82, 0xffffff                               // 0000000050D0: 8652FF52 00FFFFFF
	s_cmp_lt_u32 s82, s66                                      // 0000000050D8: BF0A4252
	s_cselect_b32 s20, s36, s60                                // 0000000050DC: 85143C24
	v_readlane_b32 s82, v3, 13                                 // 0000000050E0: D2890052 00011B03
	s_and_b32 s82, s82, 0xffffff                               // 0000000050E8: 8652FF52 00FFFFFF
	s_cmp_lt_u32 s82, s66                                      // 0000000050F0: BF0A4252
	s_cselect_b32 s21, s36, s60                                // 0000000050F4: 85153C24
	s_mov_b64 exec, s[20:21]                                   // 0000000050F8: BEFE0114
	buffer_store_dword v68, v6, s[8:11], 0 offen               // 0000000050FC: E0701000 80024406
	buffer_store_dword v70, v6, s[8:11], 0 offen offset:128    // 000000005104: E0701080 80024606
	s_mov_b64 exec, s[36:37]                                   // 00000000510C: BEFE0124
	v_mov_b32_e32 v6, v51                                      // 000000005110: 7E0C0333
	s_mov_b64 s[60:61], 0                                      // 000000005114: BEBC0180
	v_readlane_b32 s82, v3, 14                                 // 000000005118: D2890052 00011D03
	s_and_b32 s82, s82, 0xffffff                               // 000000005120: 8652FF52 00FFFFFF
	s_cmp_lt_u32 s82, s66                                      // 000000005128: BF0A4252
	s_cselect_b32 s20, s36, s60                                // 00000000512C: 85143C24
	v_readlane_b32 s82, v3, 15                                 // 000000005130: D2890052 00011F03
	s_and_b32 s82, s82, 0xffffff                               // 000000005138: 8652FF52 00FFFFFF
	s_cmp_lt_u32 s82, s66                                      // 000000005140: BF0A4252
	s_cselect_b32 s21, s36, s60                                // 000000005144: 85153C24
	s_mov_b64 exec, s[20:21]                                   // 000000005148: BEFE0114
	buffer_store_dword v69, v6, s[8:11], 0 offen               // 00000000514C: E0701000 80024506
	buffer_store_dword v71, v6, s[8:11], 0 offen offset:128    // 000000005154: E0701080 80024706
	s_mov_b64 exec, s[36:37]                                   // 00000000515C: BEFE0124
	s_branch label_198C                                        // 000000005160: BF820FB0

0000000000005164 <label_09D9>:
	ds_write_b64 v20, v[56:57]                                 // 000000005164: D89A0000 00003814
	ds_write_b64 v20, v[60:61] offset:4352                     // 00000000516C: D89A1100 00003C14
	ds_write_b64 v20, v[64:65] offset:8704                     // 000000005174: D89A2200 00004014
	ds_write_b64 v20, v[68:69] offset:13056                    // 00000000517C: D89A3300 00004414
	ds_write_b64 v20, v[72:73] offset:2176                     // 000000005184: D89A0880 00004814
	ds_write_b64 v20, v[76:77] offset:6528                     // 00000000518C: D89A1980 00004C14
	ds_write_b64 v20, v[80:81] offset:10880                    // 000000005194: D89A2A80 00005014
	ds_write_b64 v20, v[84:85] offset:15232                    // 00000000519C: D89A3B80 00005414
	v_lshrrev_b32_e32 v4, 5, v0                                // 0000000051A4: 20080085
	v_xor_b32_e32 v5, 1, v4                                    // 0000000051A8: 2A0A0881
	s_mul_i32 s60, s65, 2                                      // 0000000051AC: 923C8241
	s_cmp_eq_u32 s88, 0                                        // 0000000051B0: BF068058
	s_cselect_b32 s61, 1, 4                                    // 0000000051B4: 853D8481
	s_mul_i32 s60, s61, s60                                    // 0000000051B8: 923C3C3D
	v_readlane_b32 s82, v3, 0                                  // 0000000051BC: D2890052 00010103
	s_lshr_b32 s61, s82, 24                                    // 0000000051C4: 8F3D9852
	s_and_b32 s82, s82, 0xffffff                               // 0000000051C8: 8652FF52 00FFFFFF
	s_mul_i32 s82, s82, s71                                    // 0000000051D0: 92524752
	s_mul_i32 s61, s60, s61                                    // 0000000051D4: 923D3D3C
	s_add_u32 s82, s82, s61                                    // 0000000051D8: 80523D52
	v_mul_lo_u32 v6, v5, s82                                   // 0000000051DC: D2850006 0000A505
	v_readlane_b32 s82, v3, 1                                  // 0000000051E4: D2890052 00010303
	s_lshr_b32 s61, s82, 24                                    // 0000000051EC: 8F3D9852
	s_and_b32 s82, s82, 0xffffff                               // 0000000051F0: 8652FF52 00FFFFFF
	s_mul_i32 s82, s82, s71                                    // 0000000051F8: 92524752
	s_mul_i32 s61, s60, s61                                    // 0000000051FC: 923D3D3C
	s_add_u32 s82, s82, s61                                    // 000000005200: 80523D52
	v_mul_lo_u32 v7, v4, s82                                   // 000000005204: D2850007 0000A504
	v_add_u32_e32 v44, v6, v7                                  // 00000000520C: 68580F06
	v_readlane_b32 s82, v3, 2                                  // 000000005210: D2890052 00010503
	s_lshr_b32 s61, s82, 24                                    // 000000005218: 8F3D9852
	s_and_b32 s82, s82, 0xffffff                               // 00000000521C: 8652FF52 00FFFFFF
	s_mul_i32 s82, s82, s71                                    // 000000005224: 92524752
	s_mul_i32 s61, s60, s61                                    // 000000005228: 923D3D3C
	s_add_u32 s82, s82, s61                                    // 00000000522C: 80523D52
	v_mul_lo_u32 v6, v5, s82                                   // 000000005230: D2850006 0000A505
	v_readlane_b32 s82, v3, 3                                  // 000000005238: D2890052 00010703
	s_lshr_b32 s61, s82, 24                                    // 000000005240: 8F3D9852
	s_and_b32 s82, s82, 0xffffff                               // 000000005244: 8652FF52 00FFFFFF
	s_mul_i32 s82, s82, s71                                    // 00000000524C: 92524752
	s_mul_i32 s61, s60, s61                                    // 000000005250: 923D3D3C
	s_add_u32 s82, s82, s61                                    // 000000005254: 80523D52
	v_mul_lo_u32 v7, v4, s82                                   // 000000005258: D2850007 0000A504
	v_add_u32_e32 v45, v6, v7                                  // 000000005260: 685A0F06
	v_readlane_b32 s82, v3, 4                                  // 000000005264: D2890052 00010903
	s_lshr_b32 s61, s82, 24                                    // 00000000526C: 8F3D9852
	s_and_b32 s82, s82, 0xffffff                               // 000000005270: 8652FF52 00FFFFFF
	s_mul_i32 s82, s82, s71                                    // 000000005278: 92524752
	s_mul_i32 s61, s60, s61                                    // 00000000527C: 923D3D3C
	s_add_u32 s82, s82, s61                                    // 000000005280: 80523D52
	v_mul_lo_u32 v6, v5, s82                                   // 000000005284: D2850006 0000A505
	v_readlane_b32 s82, v3, 5                                  // 00000000528C: D2890052 00010B03
	s_lshr_b32 s61, s82, 24                                    // 000000005294: 8F3D9852
	s_and_b32 s82, s82, 0xffffff                               // 000000005298: 8652FF52 00FFFFFF
	s_mul_i32 s82, s82, s71                                    // 0000000052A0: 92524752
	s_mul_i32 s61, s60, s61                                    // 0000000052A4: 923D3D3C
	s_add_u32 s82, s82, s61                                    // 0000000052A8: 80523D52
	v_mul_lo_u32 v7, v4, s82                                   // 0000000052AC: D2850007 0000A504
	v_add_u32_e32 v46, v6, v7                                  // 0000000052B4: 685C0F06
	v_readlane_b32 s82, v3, 6                                  // 0000000052B8: D2890052 00010D03
	s_lshr_b32 s61, s82, 24                                    // 0000000052C0: 8F3D9852
	s_and_b32 s82, s82, 0xffffff                               // 0000000052C4: 8652FF52 00FFFFFF
	s_mul_i32 s82, s82, s71                                    // 0000000052CC: 92524752
	s_mul_i32 s61, s60, s61                                    // 0000000052D0: 923D3D3C
	s_add_u32 s82, s82, s61                                    // 0000000052D4: 80523D52
	v_mul_lo_u32 v6, v5, s82                                   // 0000000052D8: D2850006 0000A505
	v_readlane_b32 s82, v3, 7                                  // 0000000052E0: D2890052 00010F03
	s_lshr_b32 s61, s82, 24                                    // 0000000052E8: 8F3D9852
	s_and_b32 s82, s82, 0xffffff                               // 0000000052EC: 8652FF52 00FFFFFF
	s_mul_i32 s82, s82, s71                                    // 0000000052F4: 92524752
	s_mul_i32 s61, s60, s61                                    // 0000000052F8: 923D3D3C
	s_add_u32 s82, s82, s61                                    // 0000000052FC: 80523D52
	v_mul_lo_u32 v7, v4, s82                                   // 000000005300: D2850007 0000A504
	v_add_u32_e32 v47, v6, v7                                  // 000000005308: 685E0F06
	v_readlane_b32 s82, v3, 8                                  // 00000000530C: D2890052 00011103
	s_lshr_b32 s61, s82, 24                                    // 000000005314: 8F3D9852
	s_and_b32 s82, s82, 0xffffff                               // 000000005318: 8652FF52 00FFFFFF
	s_mul_i32 s82, s82, s71                                    // 000000005320: 92524752
	s_mul_i32 s61, s60, s61                                    // 000000005324: 923D3D3C
	s_add_u32 s82, s82, s61                                    // 000000005328: 80523D52
	v_mul_lo_u32 v6, v5, s82                                   // 00000000532C: D2850006 0000A505
	v_readlane_b32 s82, v3, 9                                  // 000000005334: D2890052 00011303
	s_lshr_b32 s61, s82, 24                                    // 00000000533C: 8F3D9852
	s_and_b32 s82, s82, 0xffffff                               // 000000005340: 8652FF52 00FFFFFF
	s_mul_i32 s82, s82, s71                                    // 000000005348: 92524752
	s_mul_i32 s61, s60, s61                                    // 00000000534C: 923D3D3C
	s_add_u32 s82, s82, s61                                    // 000000005350: 80523D52
	v_mul_lo_u32 v7, v4, s82                                   // 000000005354: D2850007 0000A504
	v_add_u32_e32 v48, v6, v7                                  // 00000000535C: 68600F06
	v_readlane_b32 s82, v3, 10                                 // 000000005360: D2890052 00011503
	s_lshr_b32 s61, s82, 24                                    // 000000005368: 8F3D9852
	s_and_b32 s82, s82, 0xffffff                               // 00000000536C: 8652FF52 00FFFFFF
	s_mul_i32 s82, s82, s71                                    // 000000005374: 92524752
	s_mul_i32 s61, s60, s61                                    // 000000005378: 923D3D3C
	s_add_u32 s82, s82, s61                                    // 00000000537C: 80523D52
	v_mul_lo_u32 v6, v5, s82                                   // 000000005380: D2850006 0000A505
	v_readlane_b32 s82, v3, 11                                 // 000000005388: D2890052 00011703
	s_lshr_b32 s61, s82, 24                                    // 000000005390: 8F3D9852
	s_and_b32 s82, s82, 0xffffff                               // 000000005394: 8652FF52 00FFFFFF
	s_mul_i32 s82, s82, s71                                    // 00000000539C: 92524752
	s_mul_i32 s61, s60, s61                                    // 0000000053A0: 923D3D3C
	s_add_u32 s82, s82, s61                                    // 0000000053A4: 80523D52
	v_mul_lo_u32 v7, v4, s82                                   // 0000000053A8: D2850007 0000A504
	v_add_u32_e32 v49, v6, v7                                  // 0000000053B0: 68620F06
	v_readlane_b32 s82, v3, 12                                 // 0000000053B4: D2890052 00011903
	s_lshr_b32 s61, s82, 24                                    // 0000000053BC: 8F3D9852
	s_and_b32 s82, s82, 0xffffff                               // 0000000053C0: 8652FF52 00FFFFFF
	s_mul_i32 s82, s82, s71                                    // 0000000053C8: 92524752
	s_mul_i32 s61, s60, s61                                    // 0000000053CC: 923D3D3C
	s_add_u32 s82, s82, s61                                    // 0000000053D0: 80523D52
	v_mul_lo_u32 v6, v5, s82                                   // 0000000053D4: D2850006 0000A505
	v_readlane_b32 s82, v3, 13                                 // 0000000053DC: D2890052 00011B03
	s_lshr_b32 s61, s82, 24                                    // 0000000053E4: 8F3D9852
	s_and_b32 s82, s82, 0xffffff                               // 0000000053E8: 8652FF52 00FFFFFF
	s_mul_i32 s82, s82, s71                                    // 0000000053F0: 92524752
	s_mul_i32 s61, s60, s61                                    // 0000000053F4: 923D3D3C
	s_add_u32 s82, s82, s61                                    // 0000000053F8: 80523D52
	v_mul_lo_u32 v7, v4, s82                                   // 0000000053FC: D2850007 0000A504
	v_add_u32_e32 v50, v6, v7                                  // 000000005404: 68640F06
	v_readlane_b32 s82, v3, 14                                 // 000000005408: D2890052 00011D03
	s_lshr_b32 s61, s82, 24                                    // 000000005410: 8F3D9852
	s_and_b32 s82, s82, 0xffffff                               // 000000005414: 8652FF52 00FFFFFF
	s_mul_i32 s82, s82, s71                                    // 00000000541C: 92524752
	s_mul_i32 s61, s60, s61                                    // 000000005420: 923D3D3C
	s_add_u32 s82, s82, s61                                    // 000000005424: 80523D52
	v_mul_lo_u32 v6, v5, s82                                   // 000000005428: D2850006 0000A505
	v_readlane_b32 s82, v3, 15                                 // 000000005430: D2890052 00011F03
	s_lshr_b32 s61, s82, 24                                    // 000000005438: 8F3D9852
	s_and_b32 s82, s82, 0xffffff                               // 00000000543C: 8652FF52 00FFFFFF
	s_mul_i32 s82, s82, s71                                    // 000000005444: 92524752
	s_mul_i32 s61, s60, s61                                    // 000000005448: 923D3D3C
	s_add_u32 s82, s82, s61                                    // 00000000544C: 80523D52
	v_mul_lo_u32 v7, v4, s82                                   // 000000005450: D2850007 0000A504
	v_add_u32_e32 v51, v6, v7                                  // 000000005458: 68660F06
	v_and_b32_e32 v4, 31, v0                                   // 00000000545C: 2608009F
	v_lshrrev_b32_e32 v4, 1, v4                                // 000000005460: 20080881
	s_cmp_eq_u32 s88, 0                                        // 000000005464: BF068058
	s_cselect_b32 s61, 2, 4                                    // 000000005468: 853D8482
	v_mul_lo_u32 v4, v4, s61                                   // 00000000546C: D2850004 00007B04
	v_and_b32_e64 v5, v0, 1                                    // 000000005474: D1130005 00010300
	v_add_u32_e32 v4, v4, v5                                   // 00000000547C: 68080B04
	v_lshlrev_b32_e32 v4, 2, v4                                // 000000005480: 24080882
	v_add_u32_e32 v44, v44, v4                                 // 000000005484: 6858092C
	v_add_u32_e32 v45, v45, v4                                 // 000000005488: 685A092D
	v_add_u32_e32 v46, v46, v4                                 // 00000000548C: 685C092E
	v_add_u32_e32 v47, v47, v4                                 // 000000005490: 685E092F
	v_add_u32_e32 v48, v48, v4                                 // 000000005494: 68600930
	v_add_u32_e32 v49, v49, v4                                 // 000000005498: 68620931
	v_add_u32_e32 v50, v50, v4                                 // 00000000549C: 68640932
	v_add_u32_e32 v51, v51, v4                                 // 0000000054A0: 68660933
	s_waitcnt lgkmcnt(0)                                       // 0000000054A4: BF8CC07F
	s_barrier                                                  // 0000000054A8: BF8A0000
	ds_read_b32 v56, v21                                       // 0000000054AC: D86C0000 38000015
	ds_read_b32 v57, v21 offset:64                             // 0000000054B4: D86C0040 39000015
	ds_read_b32 v60, v21 offset:2176                           // 0000000054BC: D86C0880 3C000015
	ds_read_b32 v61, v21 offset:2240                           // 0000000054C4: D86C08C0 3D000015
	ds_read_b32 v64, v21 offset:4352                           // 0000000054CC: D86C1100 40000015
	ds_read_b32 v65, v21 offset:4416                           // 0000000054D4: D86C1140 41000015
	ds_read_b32 v68, v21 offset:6528                           // 0000000054DC: D86C1980 44000015
	ds_read_b32 v69, v21 offset:6592                           // 0000000054E4: D86C19C0 45000015
	ds_read_b32 v72, v21 offset:8704                           // 0000000054EC: D86C2200 48000015
	ds_read_b32 v73, v21 offset:8768                           // 0000000054F4: D86C2240 49000015
	ds_read_b32 v76, v21 offset:10880                          // 0000000054FC: D86C2A80 4C000015
	ds_read_b32 v77, v21 offset:10944                          // 000000005504: D86C2AC0 4D000015
	ds_read_b32 v80, v21 offset:13056                          // 00000000550C: D86C3300 50000015
	ds_read_b32 v81, v21 offset:13120                          // 000000005514: D86C3340 51000015
	ds_read_b32 v84, v21 offset:15232                          // 00000000551C: D86C3B80 54000015
	ds_read_b32 v85, v21 offset:15296                          // 000000005524: D86C3BC0 55000015
	s_waitcnt lgkmcnt(0)                                       // 00000000552C: BF8CC07F
	s_mov_b32 s36, -1                                          // 000000005530: BEA400C1
	s_mov_b32 s37, -1                                          // 000000005534: BEA500C1
	v_mov_b32_e32 v7, 0                                        // 000000005538: 7E0E0280
	s_mov_b64 exec, s[36:37]                                   // 00000000553C: BEFE0124
	v_mov_b32_e32 v6, v44                                      // 000000005540: 7E0C032C
	s_mov_b64 s[60:61], 0                                      // 000000005544: BEBC0180
	v_readlane_b32 s82, v3, 0                                  // 000000005548: D2890052 00010103
	s_and_b32 s82, s82, 0xffffff                               // 000000005550: 8652FF52 00FFFFFF
	s_cmp_lt_u32 s82, s66                                      // 000000005558: BF0A4252
	s_cselect_b32 s20, s36, s60                                // 00000000555C: 85143C24
	v_readlane_b32 s82, v3, 1                                  // 000000005560: D2890052 00010303
	s_and_b32 s82, s82, 0xffffff                               // 000000005568: 8652FF52 00FFFFFF
	s_cmp_lt_u32 s82, s66                                      // 000000005570: BF0A4252
	s_cselect_b32 s21, s36, s60                                // 000000005574: 85153C24
	s_mov_b64 exec, s[20:21]                                   // 000000005578: BEFE0114
	global_atomic_add_f32 v6, v56, s[8:9]                      // 00000000557C: DD348000 00083806
	global_atomic_add_f32 v6, v60, s[8:9] offset:256           // 000000005584: DD348100 00083C06
	s_mov_b64 exec, s[36:37]                                   // 00000000558C: BEFE0124
	v_mov_b32_e32 v6, v45                                      // 000000005590: 7E0C032D
	s_mov_b64 s[60:61], 0                                      // 000000005594: BEBC0180
	v_readlane_b32 s82, v3, 2                                  // 000000005598: D2890052 00010503
	s_and_b32 s82, s82, 0xffffff                               // 0000000055A0: 8652FF52 00FFFFFF
	s_cmp_lt_u32 s82, s66                                      // 0000000055A8: BF0A4252
	s_cselect_b32 s20, s36, s60                                // 0000000055AC: 85143C24
	v_readlane_b32 s82, v3, 3                                  // 0000000055B0: D2890052 00010703
	s_and_b32 s82, s82, 0xffffff                               // 0000000055B8: 8652FF52 00FFFFFF
	s_cmp_lt_u32 s82, s66                                      // 0000000055C0: BF0A4252
	s_cselect_b32 s21, s36, s60                                // 0000000055C4: 85153C24
	s_mov_b64 exec, s[20:21]                                   // 0000000055C8: BEFE0114
	global_atomic_add_f32 v6, v57, s[8:9]                      // 0000000055CC: DD348000 00083906
	global_atomic_add_f32 v6, v61, s[8:9] offset:256           // 0000000055D4: DD348100 00083D06
	s_mov_b64 exec, s[36:37]                                   // 0000000055DC: BEFE0124
	v_mov_b32_e32 v6, v46                                      // 0000000055E0: 7E0C032E
	s_mov_b64 s[60:61], 0                                      // 0000000055E4: BEBC0180
	v_readlane_b32 s82, v3, 4                                  // 0000000055E8: D2890052 00010903
	s_and_b32 s82, s82, 0xffffff                               // 0000000055F0: 8652FF52 00FFFFFF
	s_cmp_lt_u32 s82, s66                                      // 0000000055F8: BF0A4252
	s_cselect_b32 s20, s36, s60                                // 0000000055FC: 85143C24
	v_readlane_b32 s82, v3, 5                                  // 000000005600: D2890052 00010B03
	s_and_b32 s82, s82, 0xffffff                               // 000000005608: 8652FF52 00FFFFFF
	s_cmp_lt_u32 s82, s66                                      // 000000005610: BF0A4252
	s_cselect_b32 s21, s36, s60                                // 000000005614: 85153C24
	s_mov_b64 exec, s[20:21]                                   // 000000005618: BEFE0114
	global_atomic_add_f32 v6, v64, s[8:9]                      // 00000000561C: DD348000 00084006
	global_atomic_add_f32 v6, v68, s[8:9] offset:256           // 000000005624: DD348100 00084406
	s_mov_b64 exec, s[36:37]                                   // 00000000562C: BEFE0124
	v_mov_b32_e32 v6, v47                                      // 000000005630: 7E0C032F
	s_mov_b64 s[60:61], 0                                      // 000000005634: BEBC0180
	v_readlane_b32 s82, v3, 6                                  // 000000005638: D2890052 00010D03
	s_and_b32 s82, s82, 0xffffff                               // 000000005640: 8652FF52 00FFFFFF
	s_cmp_lt_u32 s82, s66                                      // 000000005648: BF0A4252
	s_cselect_b32 s20, s36, s60                                // 00000000564C: 85143C24
	v_readlane_b32 s82, v3, 7                                  // 000000005650: D2890052 00010F03
	s_and_b32 s82, s82, 0xffffff                               // 000000005658: 8652FF52 00FFFFFF
	s_cmp_lt_u32 s82, s66                                      // 000000005660: BF0A4252
	s_cselect_b32 s21, s36, s60                                // 000000005664: 85153C24
	s_mov_b64 exec, s[20:21]                                   // 000000005668: BEFE0114
	global_atomic_add_f32 v6, v65, s[8:9]                      // 00000000566C: DD348000 00084106
	global_atomic_add_f32 v6, v69, s[8:9] offset:256           // 000000005674: DD348100 00084506
	s_mov_b64 exec, s[36:37]                                   // 00000000567C: BEFE0124
	v_mov_b32_e32 v6, v48                                      // 000000005680: 7E0C0330
	s_mov_b64 s[60:61], 0                                      // 000000005684: BEBC0180
	v_readlane_b32 s82, v3, 8                                  // 000000005688: D2890052 00011103
	s_and_b32 s82, s82, 0xffffff                               // 000000005690: 8652FF52 00FFFFFF
	s_cmp_lt_u32 s82, s66                                      // 000000005698: BF0A4252
	s_cselect_b32 s20, s36, s60                                // 00000000569C: 85143C24
	v_readlane_b32 s82, v3, 9                                  // 0000000056A0: D2890052 00011303
	s_and_b32 s82, s82, 0xffffff                               // 0000000056A8: 8652FF52 00FFFFFF
	s_cmp_lt_u32 s82, s66                                      // 0000000056B0: BF0A4252
	s_cselect_b32 s21, s36, s60                                // 0000000056B4: 85153C24
	s_mov_b64 exec, s[20:21]                                   // 0000000056B8: BEFE0114
	global_atomic_add_f32 v6, v72, s[8:9]                      // 0000000056BC: DD348000 00084806
	global_atomic_add_f32 v6, v76, s[8:9] offset:256           // 0000000056C4: DD348100 00084C06
	s_mov_b64 exec, s[36:37]                                   // 0000000056CC: BEFE0124
	v_mov_b32_e32 v6, v49                                      // 0000000056D0: 7E0C0331
	s_mov_b64 s[60:61], 0                                      // 0000000056D4: BEBC0180
	v_readlane_b32 s82, v3, 10                                 // 0000000056D8: D2890052 00011503
	s_and_b32 s82, s82, 0xffffff                               // 0000000056E0: 8652FF52 00FFFFFF
	s_cmp_lt_u32 s82, s66                                      // 0000000056E8: BF0A4252
	s_cselect_b32 s20, s36, s60                                // 0000000056EC: 85143C24
	v_readlane_b32 s82, v3, 11                                 // 0000000056F0: D2890052 00011703
	s_and_b32 s82, s82, 0xffffff                               // 0000000056F8: 8652FF52 00FFFFFF
	s_cmp_lt_u32 s82, s66                                      // 000000005700: BF0A4252
	s_cselect_b32 s21, s36, s60                                // 000000005704: 85153C24
	s_mov_b64 exec, s[20:21]                                   // 000000005708: BEFE0114
	global_atomic_add_f32 v6, v73, s[8:9]                      // 00000000570C: DD348000 00084906
	global_atomic_add_f32 v6, v77, s[8:9] offset:256           // 000000005714: DD348100 00084D06
	s_mov_b64 exec, s[36:37]                                   // 00000000571C: BEFE0124
	v_mov_b32_e32 v6, v50                                      // 000000005720: 7E0C0332
	s_mov_b64 s[60:61], 0                                      // 000000005724: BEBC0180
	v_readlane_b32 s82, v3, 12                                 // 000000005728: D2890052 00011903
	s_and_b32 s82, s82, 0xffffff                               // 000000005730: 8652FF52 00FFFFFF
	s_cmp_lt_u32 s82, s66                                      // 000000005738: BF0A4252
	s_cselect_b32 s20, s36, s60                                // 00000000573C: 85143C24
	v_readlane_b32 s82, v3, 13                                 // 000000005740: D2890052 00011B03
	s_and_b32 s82, s82, 0xffffff                               // 000000005748: 8652FF52 00FFFFFF
	s_cmp_lt_u32 s82, s66                                      // 000000005750: BF0A4252
	s_cselect_b32 s21, s36, s60                                // 000000005754: 85153C24
	s_mov_b64 exec, s[20:21]                                   // 000000005758: BEFE0114
	global_atomic_add_f32 v6, v80, s[8:9]                      // 00000000575C: DD348000 00085006
	global_atomic_add_f32 v6, v84, s[8:9] offset:256           // 000000005764: DD348100 00085406
	s_mov_b64 exec, s[36:37]                                   // 00000000576C: BEFE0124
	v_mov_b32_e32 v6, v51                                      // 000000005770: 7E0C0333
	s_mov_b64 s[60:61], 0                                      // 000000005774: BEBC0180
	v_readlane_b32 s82, v3, 14                                 // 000000005778: D2890052 00011D03
	s_and_b32 s82, s82, 0xffffff                               // 000000005780: 8652FF52 00FFFFFF
	s_cmp_lt_u32 s82, s66                                      // 000000005788: BF0A4252
	s_cselect_b32 s20, s36, s60                                // 00000000578C: 85143C24
	v_readlane_b32 s82, v3, 15                                 // 000000005790: D2890052 00011F03
	s_and_b32 s82, s82, 0xffffff                               // 000000005798: 8652FF52 00FFFFFF
	s_cmp_lt_u32 s82, s66                                      // 0000000057A0: BF0A4252
	s_cselect_b32 s21, s36, s60                                // 0000000057A4: 85153C24
	s_mov_b64 exec, s[20:21]                                   // 0000000057A8: BEFE0114
	global_atomic_add_f32 v6, v81, s[8:9]                      // 0000000057AC: DD348000 00085106
	global_atomic_add_f32 v6, v85, s[8:9] offset:256           // 0000000057B4: DD348100 00085506
	s_mov_b64 exec, s[36:37]                                   // 0000000057BC: BEFE0124
	ds_write_b64 v20, v[58:59]                                 // 0000000057C0: D89A0000 00003A14
	ds_write_b64 v20, v[62:63] offset:4352                     // 0000000057C8: D89A1100 00003E14
	ds_write_b64 v20, v[66:67] offset:8704                     // 0000000057D0: D89A2200 00004214
	ds_write_b64 v20, v[70:71] offset:13056                    // 0000000057D8: D89A3300 00004614
	ds_write_b64 v20, v[74:75] offset:2176                     // 0000000057E0: D89A0880 00004A14
	ds_write_b64 v20, v[78:79] offset:6528                     // 0000000057E8: D89A1980 00004E14
	ds_write_b64 v20, v[82:83] offset:10880                    // 0000000057F0: D89A2A80 00005214
	ds_write_b64 v20, v[86:87] offset:15232                    // 0000000057F8: D89A3B80 00005614
	s_waitcnt lgkmcnt(0)                                       // 000000005800: BF8CC07F
	s_barrier                                                  // 000000005804: BF8A0000
	ds_read_b32 v58, v21                                       // 000000005808: D86C0000 3A000015
	ds_read_b32 v59, v21 offset:64                             // 000000005810: D86C0040 3B000015
	ds_read_b32 v62, v21 offset:2176                           // 000000005818: D86C0880 3E000015
	ds_read_b32 v63, v21 offset:2240                           // 000000005820: D86C08C0 3F000015
	ds_read_b32 v66, v21 offset:4352                           // 000000005828: D86C1100 42000015
	ds_read_b32 v67, v21 offset:4416                           // 000000005830: D86C1140 43000015
	ds_read_b32 v70, v21 offset:6528                           // 000000005838: D86C1980 46000015
	ds_read_b32 v71, v21 offset:6592                           // 000000005840: D86C19C0 47000015
	ds_read_b32 v74, v21 offset:8704                           // 000000005848: D86C2200 4A000015
	ds_read_b32 v75, v21 offset:8768                           // 000000005850: D86C2240 4B000015
	ds_read_b32 v78, v21 offset:10880                          // 000000005858: D86C2A80 4E000015
	ds_read_b32 v79, v21 offset:10944                          // 000000005860: D86C2AC0 4F000015
	ds_read_b32 v82, v21 offset:13056                          // 000000005868: D86C3300 52000015
	ds_read_b32 v83, v21 offset:13120                          // 000000005870: D86C3340 53000015
	ds_read_b32 v86, v21 offset:15232                          // 000000005878: D86C3B80 56000015
	ds_read_b32 v87, v21 offset:15296                          // 000000005880: D86C3BC0 57000015
	s_waitcnt lgkmcnt(0)                                       // 000000005888: BF8CC07F
	v_mov_b32_e32 v7, 0                                        // 00000000588C: 7E0E0280
	s_mov_b64 exec, s[36:37]                                   // 000000005890: BEFE0124
	v_mov_b32_e32 v6, v44                                      // 000000005894: 7E0C032C
	s_mov_b64 s[60:61], 0                                      // 000000005898: BEBC0180
	v_readlane_b32 s82, v3, 0                                  // 00000000589C: D2890052 00010103
	s_and_b32 s82, s82, 0xffffff                               // 0000000058A4: 8652FF52 00FFFFFF
	s_cmp_lt_u32 s82, s66                                      // 0000000058AC: BF0A4252
	s_cselect_b32 s20, s36, s60                                // 0000000058B0: 85143C24
	v_readlane_b32 s82, v3, 1                                  // 0000000058B4: D2890052 00010303
	s_and_b32 s82, s82, 0xffffff                               // 0000000058BC: 8652FF52 00FFFFFF
	s_cmp_lt_u32 s82, s66                                      // 0000000058C4: BF0A4252
	s_cselect_b32 s21, s36, s60                                // 0000000058C8: 85153C24
	s_mov_b64 exec, s[20:21]                                   // 0000000058CC: BEFE0114
	global_atomic_add_f32 v6, v58, s[8:9] offset:8             // 0000000058D0: DD348008 00083A06
	global_atomic_add_f32 v6, v62, s[8:9] offset:264           // 0000000058D8: DD348108 00083E06
	s_mov_b64 exec, s[36:37]                                   // 0000000058E0: BEFE0124
	v_mov_b32_e32 v6, v45                                      // 0000000058E4: 7E0C032D
	s_mov_b64 s[60:61], 0                                      // 0000000058E8: BEBC0180
	v_readlane_b32 s82, v3, 2                                  // 0000000058EC: D2890052 00010503
	s_and_b32 s82, s82, 0xffffff                               // 0000000058F4: 8652FF52 00FFFFFF
	s_cmp_lt_u32 s82, s66                                      // 0000000058FC: BF0A4252
	s_cselect_b32 s20, s36, s60                                // 000000005900: 85143C24
	v_readlane_b32 s82, v3, 3                                  // 000000005904: D2890052 00010703
	s_and_b32 s82, s82, 0xffffff                               // 00000000590C: 8652FF52 00FFFFFF
	s_cmp_lt_u32 s82, s66                                      // 000000005914: BF0A4252
	s_cselect_b32 s21, s36, s60                                // 000000005918: 85153C24
	s_mov_b64 exec, s[20:21]                                   // 00000000591C: BEFE0114
	global_atomic_add_f32 v6, v59, s[8:9] offset:8             // 000000005920: DD348008 00083B06
	global_atomic_add_f32 v6, v63, s[8:9] offset:264           // 000000005928: DD348108 00083F06
	s_mov_b64 exec, s[36:37]                                   // 000000005930: BEFE0124
	v_mov_b32_e32 v6, v46                                      // 000000005934: 7E0C032E
	s_mov_b64 s[60:61], 0                                      // 000000005938: BEBC0180
	v_readlane_b32 s82, v3, 4                                  // 00000000593C: D2890052 00010903
	s_and_b32 s82, s82, 0xffffff                               // 000000005944: 8652FF52 00FFFFFF
	s_cmp_lt_u32 s82, s66                                      // 00000000594C: BF0A4252
	s_cselect_b32 s20, s36, s60                                // 000000005950: 85143C24
	v_readlane_b32 s82, v3, 5                                  // 000000005954: D2890052 00010B03
	s_and_b32 s82, s82, 0xffffff                               // 00000000595C: 8652FF52 00FFFFFF
	s_cmp_lt_u32 s82, s66                                      // 000000005964: BF0A4252
	s_cselect_b32 s21, s36, s60                                // 000000005968: 85153C24
	s_mov_b64 exec, s[20:21]                                   // 00000000596C: BEFE0114
	global_atomic_add_f32 v6, v66, s[8:9] offset:8             // 000000005970: DD348008 00084206
	global_atomic_add_f32 v6, v70, s[8:9] offset:264           // 000000005978: DD348108 00084606
	s_mov_b64 exec, s[36:37]                                   // 000000005980: BEFE0124
	v_mov_b32_e32 v6, v47                                      // 000000005984: 7E0C032F
	s_mov_b64 s[60:61], 0                                      // 000000005988: BEBC0180
	v_readlane_b32 s82, v3, 6                                  // 00000000598C: D2890052 00010D03
	s_and_b32 s82, s82, 0xffffff                               // 000000005994: 8652FF52 00FFFFFF
	s_cmp_lt_u32 s82, s66                                      // 00000000599C: BF0A4252
	s_cselect_b32 s20, s36, s60                                // 0000000059A0: 85143C24
	v_readlane_b32 s82, v3, 7                                  // 0000000059A4: D2890052 00010F03
	s_and_b32 s82, s82, 0xffffff                               // 0000000059AC: 8652FF52 00FFFFFF
	s_cmp_lt_u32 s82, s66                                      // 0000000059B4: BF0A4252
	s_cselect_b32 s21, s36, s60                                // 0000000059B8: 85153C24
	s_mov_b64 exec, s[20:21]                                   // 0000000059BC: BEFE0114
	global_atomic_add_f32 v6, v67, s[8:9] offset:8             // 0000000059C0: DD348008 00084306
	global_atomic_add_f32 v6, v71, s[8:9] offset:264           // 0000000059C8: DD348108 00084706
	s_mov_b64 exec, s[36:37]                                   // 0000000059D0: BEFE0124
	v_mov_b32_e32 v6, v48                                      // 0000000059D4: 7E0C0330
	s_mov_b64 s[60:61], 0                                      // 0000000059D8: BEBC0180
	v_readlane_b32 s82, v3, 8                                  // 0000000059DC: D2890052 00011103
	s_and_b32 s82, s82, 0xffffff                               // 0000000059E4: 8652FF52 00FFFFFF
	s_cmp_lt_u32 s82, s66                                      // 0000000059EC: BF0A4252
	s_cselect_b32 s20, s36, s60                                // 0000000059F0: 85143C24
	v_readlane_b32 s82, v3, 9                                  // 0000000059F4: D2890052 00011303
	s_and_b32 s82, s82, 0xffffff                               // 0000000059FC: 8652FF52 00FFFFFF
	s_cmp_lt_u32 s82, s66                                      // 000000005A04: BF0A4252
	s_cselect_b32 s21, s36, s60                                // 000000005A08: 85153C24
	s_mov_b64 exec, s[20:21]                                   // 000000005A0C: BEFE0114
	global_atomic_add_f32 v6, v74, s[8:9] offset:8             // 000000005A10: DD348008 00084A06
	global_atomic_add_f32 v6, v78, s[8:9] offset:264           // 000000005A18: DD348108 00084E06
	s_mov_b64 exec, s[36:37]                                   // 000000005A20: BEFE0124
	v_mov_b32_e32 v6, v49                                      // 000000005A24: 7E0C0331
	s_mov_b64 s[60:61], 0                                      // 000000005A28: BEBC0180
	v_readlane_b32 s82, v3, 10                                 // 000000005A2C: D2890052 00011503
	s_and_b32 s82, s82, 0xffffff                               // 000000005A34: 8652FF52 00FFFFFF
	s_cmp_lt_u32 s82, s66                                      // 000000005A3C: BF0A4252
	s_cselect_b32 s20, s36, s60                                // 000000005A40: 85143C24
	v_readlane_b32 s82, v3, 11                                 // 000000005A44: D2890052 00011703
	s_and_b32 s82, s82, 0xffffff                               // 000000005A4C: 8652FF52 00FFFFFF
	s_cmp_lt_u32 s82, s66                                      // 000000005A54: BF0A4252
	s_cselect_b32 s21, s36, s60                                // 000000005A58: 85153C24
	s_mov_b64 exec, s[20:21]                                   // 000000005A5C: BEFE0114
	global_atomic_add_f32 v6, v75, s[8:9] offset:8             // 000000005A60: DD348008 00084B06
	global_atomic_add_f32 v6, v79, s[8:9] offset:264           // 000000005A68: DD348108 00084F06
	s_mov_b64 exec, s[36:37]                                   // 000000005A70: BEFE0124
	v_mov_b32_e32 v6, v50                                      // 000000005A74: 7E0C0332
	s_mov_b64 s[60:61], 0                                      // 000000005A78: BEBC0180
	v_readlane_b32 s82, v3, 12                                 // 000000005A7C: D2890052 00011903
	s_and_b32 s82, s82, 0xffffff                               // 000000005A84: 8652FF52 00FFFFFF
	s_cmp_lt_u32 s82, s66                                      // 000000005A8C: BF0A4252
	s_cselect_b32 s20, s36, s60                                // 000000005A90: 85143C24
	v_readlane_b32 s82, v3, 13                                 // 000000005A94: D2890052 00011B03
	s_and_b32 s82, s82, 0xffffff                               // 000000005A9C: 8652FF52 00FFFFFF
	s_cmp_lt_u32 s82, s66                                      // 000000005AA4: BF0A4252
	s_cselect_b32 s21, s36, s60                                // 000000005AA8: 85153C24
	s_mov_b64 exec, s[20:21]                                   // 000000005AAC: BEFE0114
	global_atomic_add_f32 v6, v82, s[8:9] offset:8             // 000000005AB0: DD348008 00085206
	global_atomic_add_f32 v6, v86, s[8:9] offset:264           // 000000005AB8: DD348108 00085606
	s_mov_b64 exec, s[36:37]                                   // 000000005AC0: BEFE0124
	v_mov_b32_e32 v6, v51                                      // 000000005AC4: 7E0C0333
	s_mov_b64 s[60:61], 0                                      // 000000005AC8: BEBC0180
	v_readlane_b32 s82, v3, 14                                 // 000000005ACC: D2890052 00011D03
	s_and_b32 s82, s82, 0xffffff                               // 000000005AD4: 8652FF52 00FFFFFF
	s_cmp_lt_u32 s82, s66                                      // 000000005ADC: BF0A4252
	s_cselect_b32 s20, s36, s60                                // 000000005AE0: 85143C24
	v_readlane_b32 s82, v3, 15                                 // 000000005AE4: D2890052 00011F03
	s_and_b32 s82, s82, 0xffffff                               // 000000005AEC: 8652FF52 00FFFFFF
	s_cmp_lt_u32 s82, s66                                      // 000000005AF4: BF0A4252
	s_cselect_b32 s21, s36, s60                                // 000000005AF8: 85153C24
	s_mov_b64 exec, s[20:21]                                   // 000000005AFC: BEFE0114
	global_atomic_add_f32 v6, v83, s[8:9] offset:8             // 000000005B00: DD348008 00085306
	global_atomic_add_f32 v6, v87, s[8:9] offset:264           // 000000005B08: DD348108 00085706
	s_mov_b64 exec, s[36:37]                                   // 000000005B10: BEFE0124
	ds_write_b64 v20, v[88:89]                                 // 000000005B14: D89A0000 00005814
	ds_write_b64 v20, v[92:93] offset:4352                     // 000000005B1C: D89A1100 00005C14
	ds_write_b64 v20, v[96:97] offset:8704                     // 000000005B24: D89A2200 00006014
	ds_write_b64 v20, v[100:101] offset:13056                  // 000000005B2C: D89A3300 00006414
	ds_write_b64 v20, v[104:105] offset:2176                   // 000000005B34: D89A0880 00006814
	ds_write_b64 v20, v[108:109] offset:6528                   // 000000005B3C: D89A1980 00006C14
	ds_write_b64 v20, v[112:113] offset:10880                  // 000000005B44: D89A2A80 00007014
	ds_write_b64 v20, v[116:117] offset:15232                  // 000000005B4C: D89A3B80 00007414
	s_waitcnt lgkmcnt(0)                                       // 000000005B54: BF8CC07F
	s_barrier                                                  // 000000005B58: BF8A0000
	ds_read_b32 v88, v21                                       // 000000005B5C: D86C0000 58000015
	ds_read_b32 v89, v21 offset:64                             // 000000005B64: D86C0040 59000015
	ds_read_b32 v92, v21 offset:2176                           // 000000005B6C: D86C0880 5C000015
	ds_read_b32 v93, v21 offset:2240                           // 000000005B74: D86C08C0 5D000015
	ds_read_b32 v96, v21 offset:4352                           // 000000005B7C: D86C1100 60000015
	ds_read_b32 v97, v21 offset:4416                           // 000000005B84: D86C1140 61000015
	ds_read_b32 v100, v21 offset:6528                          // 000000005B8C: D86C1980 64000015
	ds_read_b32 v101, v21 offset:6592                          // 000000005B94: D86C19C0 65000015
	ds_read_b32 v104, v21 offset:8704                          // 000000005B9C: D86C2200 68000015
	ds_read_b32 v105, v21 offset:8768                          // 000000005BA4: D86C2240 69000015
	ds_read_b32 v108, v21 offset:10880                         // 000000005BAC: D86C2A80 6C000015
	ds_read_b32 v109, v21 offset:10944                         // 000000005BB4: D86C2AC0 6D000015
	ds_read_b32 v112, v21 offset:13056                         // 000000005BBC: D86C3300 70000015
	ds_read_b32 v113, v21 offset:13120                         // 000000005BC4: D86C3340 71000015
	ds_read_b32 v116, v21 offset:15232                         // 000000005BCC: D86C3B80 74000015
	ds_read_b32 v117, v21 offset:15296                         // 000000005BD4: D86C3BC0 75000015
	s_mul_i32 s60, s65, 4                                      // 000000005BDC: 923C8441
	s_add_u32 s8, s60, s8                                      // 000000005BE0: 8008083C
	s_addc_u32 s9, 0, s9                                       // 000000005BE4: 82090980
	s_waitcnt lgkmcnt(0)                                       // 000000005BE8: BF8CC07F
	v_mov_b32_e32 v7, 0                                        // 000000005BEC: 7E0E0280
	s_mov_b64 exec, s[36:37]                                   // 000000005BF0: BEFE0124
	v_mov_b32_e32 v6, v44                                      // 000000005BF4: 7E0C032C
	s_mov_b64 s[60:61], 0                                      // 000000005BF8: BEBC0180
	v_readlane_b32 s82, v3, 0                                  // 000000005BFC: D2890052 00010103
	s_and_b32 s82, s82, 0xffffff                               // 000000005C04: 8652FF52 00FFFFFF
	s_cmp_lt_u32 s82, s66                                      // 000000005C0C: BF0A4252
	s_cselect_b32 s20, s36, s60                                // 000000005C10: 85143C24
	v_readlane_b32 s82, v3, 1                                  // 000000005C14: D2890052 00010303
	s_and_b32 s82, s82, 0xffffff                               // 000000005C1C: 8652FF52 00FFFFFF
	s_cmp_lt_u32 s82, s66                                      // 000000005C24: BF0A4252
	s_cselect_b32 s21, s36, s60                                // 000000005C28: 85153C24
	s_mov_b64 exec, s[20:21]                                   // 000000005C2C: BEFE0114
	global_atomic_add_f32 v6, v88, s[8:9]                      // 000000005C30: DD348000 00085806
	global_atomic_add_f32 v6, v92, s[8:9] offset:256           // 000000005C38: DD348100 00085C06
	s_mov_b64 exec, s[36:37]                                   // 000000005C40: BEFE0124
	v_mov_b32_e32 v6, v45                                      // 000000005C44: 7E0C032D
	s_mov_b64 s[60:61], 0                                      // 000000005C48: BEBC0180
	v_readlane_b32 s82, v3, 2                                  // 000000005C4C: D2890052 00010503
	s_and_b32 s82, s82, 0xffffff                               // 000000005C54: 8652FF52 00FFFFFF
	s_cmp_lt_u32 s82, s66                                      // 000000005C5C: BF0A4252
	s_cselect_b32 s20, s36, s60                                // 000000005C60: 85143C24
	v_readlane_b32 s82, v3, 3                                  // 000000005C64: D2890052 00010703
	s_and_b32 s82, s82, 0xffffff                               // 000000005C6C: 8652FF52 00FFFFFF
	s_cmp_lt_u32 s82, s66                                      // 000000005C74: BF0A4252
	s_cselect_b32 s21, s36, s60                                // 000000005C78: 85153C24
	s_mov_b64 exec, s[20:21]                                   // 000000005C7C: BEFE0114
	global_atomic_add_f32 v6, v89, s[8:9]                      // 000000005C80: DD348000 00085906
	global_atomic_add_f32 v6, v93, s[8:9] offset:256           // 000000005C88: DD348100 00085D06
	s_mov_b64 exec, s[36:37]                                   // 000000005C90: BEFE0124
	v_mov_b32_e32 v6, v46                                      // 000000005C94: 7E0C032E
	s_mov_b64 s[60:61], 0                                      // 000000005C98: BEBC0180
	v_readlane_b32 s82, v3, 4                                  // 000000005C9C: D2890052 00010903
	s_and_b32 s82, s82, 0xffffff                               // 000000005CA4: 8652FF52 00FFFFFF
	s_cmp_lt_u32 s82, s66                                      // 000000005CAC: BF0A4252
	s_cselect_b32 s20, s36, s60                                // 000000005CB0: 85143C24
	v_readlane_b32 s82, v3, 5                                  // 000000005CB4: D2890052 00010B03
	s_and_b32 s82, s82, 0xffffff                               // 000000005CBC: 8652FF52 00FFFFFF
	s_cmp_lt_u32 s82, s66                                      // 000000005CC4: BF0A4252
	s_cselect_b32 s21, s36, s60                                // 000000005CC8: 85153C24
	s_mov_b64 exec, s[20:21]                                   // 000000005CCC: BEFE0114
	global_atomic_add_f32 v6, v96, s[8:9]                      // 000000005CD0: DD348000 00086006
	global_atomic_add_f32 v6, v100, s[8:9] offset:256          // 000000005CD8: DD348100 00086406
	s_mov_b64 exec, s[36:37]                                   // 000000005CE0: BEFE0124
	v_mov_b32_e32 v6, v47                                      // 000000005CE4: 7E0C032F
	s_mov_b64 s[60:61], 0                                      // 000000005CE8: BEBC0180
	v_readlane_b32 s82, v3, 6                                  // 000000005CEC: D2890052 00010D03
	s_and_b32 s82, s82, 0xffffff                               // 000000005CF4: 8652FF52 00FFFFFF
	s_cmp_lt_u32 s82, s66                                      // 000000005CFC: BF0A4252
	s_cselect_b32 s20, s36, s60                                // 000000005D00: 85143C24
	v_readlane_b32 s82, v3, 7                                  // 000000005D04: D2890052 00010F03
	s_and_b32 s82, s82, 0xffffff                               // 000000005D0C: 8652FF52 00FFFFFF
	s_cmp_lt_u32 s82, s66                                      // 000000005D14: BF0A4252
	s_cselect_b32 s21, s36, s60                                // 000000005D18: 85153C24
	s_mov_b64 exec, s[20:21]                                   // 000000005D1C: BEFE0114
	global_atomic_add_f32 v6, v97, s[8:9]                      // 000000005D20: DD348000 00086106
	global_atomic_add_f32 v6, v101, s[8:9] offset:256          // 000000005D28: DD348100 00086506
	s_mov_b64 exec, s[36:37]                                   // 000000005D30: BEFE0124
	v_mov_b32_e32 v6, v48                                      // 000000005D34: 7E0C0330
	s_mov_b64 s[60:61], 0                                      // 000000005D38: BEBC0180
	v_readlane_b32 s82, v3, 8                                  // 000000005D3C: D2890052 00011103
	s_and_b32 s82, s82, 0xffffff                               // 000000005D44: 8652FF52 00FFFFFF
	s_cmp_lt_u32 s82, s66                                      // 000000005D4C: BF0A4252
	s_cselect_b32 s20, s36, s60                                // 000000005D50: 85143C24
	v_readlane_b32 s82, v3, 9                                  // 000000005D54: D2890052 00011303
	s_and_b32 s82, s82, 0xffffff                               // 000000005D5C: 8652FF52 00FFFFFF
	s_cmp_lt_u32 s82, s66                                      // 000000005D64: BF0A4252
	s_cselect_b32 s21, s36, s60                                // 000000005D68: 85153C24
	s_mov_b64 exec, s[20:21]                                   // 000000005D6C: BEFE0114
	global_atomic_add_f32 v6, v104, s[8:9]                     // 000000005D70: DD348000 00086806
	global_atomic_add_f32 v6, v108, s[8:9] offset:256          // 000000005D78: DD348100 00086C06
	s_mov_b64 exec, s[36:37]                                   // 000000005D80: BEFE0124
	v_mov_b32_e32 v6, v49                                      // 000000005D84: 7E0C0331
	s_mov_b64 s[60:61], 0                                      // 000000005D88: BEBC0180
	v_readlane_b32 s82, v3, 10                                 // 000000005D8C: D2890052 00011503
	s_and_b32 s82, s82, 0xffffff                               // 000000005D94: 8652FF52 00FFFFFF
	s_cmp_lt_u32 s82, s66                                      // 000000005D9C: BF0A4252
	s_cselect_b32 s20, s36, s60                                // 000000005DA0: 85143C24
	v_readlane_b32 s82, v3, 11                                 // 000000005DA4: D2890052 00011703
	s_and_b32 s82, s82, 0xffffff                               // 000000005DAC: 8652FF52 00FFFFFF
	s_cmp_lt_u32 s82, s66                                      // 000000005DB4: BF0A4252
	s_cselect_b32 s21, s36, s60                                // 000000005DB8: 85153C24
	s_mov_b64 exec, s[20:21]                                   // 000000005DBC: BEFE0114
	global_atomic_add_f32 v6, v105, s[8:9]                     // 000000005DC0: DD348000 00086906
	global_atomic_add_f32 v6, v109, s[8:9] offset:256          // 000000005DC8: DD348100 00086D06
	s_mov_b64 exec, s[36:37]                                   // 000000005DD0: BEFE0124
	v_mov_b32_e32 v6, v50                                      // 000000005DD4: 7E0C0332
	s_mov_b64 s[60:61], 0                                      // 000000005DD8: BEBC0180
	v_readlane_b32 s82, v3, 12                                 // 000000005DDC: D2890052 00011903
	s_and_b32 s82, s82, 0xffffff                               // 000000005DE4: 8652FF52 00FFFFFF
	s_cmp_lt_u32 s82, s66                                      // 000000005DEC: BF0A4252
	s_cselect_b32 s20, s36, s60                                // 000000005DF0: 85143C24
	v_readlane_b32 s82, v3, 13                                 // 000000005DF4: D2890052 00011B03
	s_and_b32 s82, s82, 0xffffff                               // 000000005DFC: 8652FF52 00FFFFFF
	s_cmp_lt_u32 s82, s66                                      // 000000005E04: BF0A4252
	s_cselect_b32 s21, s36, s60                                // 000000005E08: 85153C24
	s_mov_b64 exec, s[20:21]                                   // 000000005E0C: BEFE0114
	global_atomic_add_f32 v6, v112, s[8:9]                     // 000000005E10: DD348000 00087006
	global_atomic_add_f32 v6, v116, s[8:9] offset:256          // 000000005E18: DD348100 00087406
	s_mov_b64 exec, s[36:37]                                   // 000000005E20: BEFE0124
	v_mov_b32_e32 v6, v51                                      // 000000005E24: 7E0C0333
	s_mov_b64 s[60:61], 0                                      // 000000005E28: BEBC0180
	v_readlane_b32 s82, v3, 14                                 // 000000005E2C: D2890052 00011D03
	s_and_b32 s82, s82, 0xffffff                               // 000000005E34: 8652FF52 00FFFFFF
	s_cmp_lt_u32 s82, s66                                      // 000000005E3C: BF0A4252
	s_cselect_b32 s20, s36, s60                                // 000000005E40: 85143C24
	v_readlane_b32 s82, v3, 15                                 // 000000005E44: D2890052 00011F03
	s_and_b32 s82, s82, 0xffffff                               // 000000005E4C: 8652FF52 00FFFFFF
	s_cmp_lt_u32 s82, s66                                      // 000000005E54: BF0A4252
	s_cselect_b32 s21, s36, s60                                // 000000005E58: 85153C24
	s_mov_b64 exec, s[20:21]                                   // 000000005E5C: BEFE0114
	global_atomic_add_f32 v6, v113, s[8:9]                     // 000000005E60: DD348000 00087106
	global_atomic_add_f32 v6, v117, s[8:9] offset:256          // 000000005E68: DD348100 00087506
	s_mov_b64 exec, s[36:37]                                   // 000000005E70: BEFE0124
	ds_write_b64 v20, v[90:91]                                 // 000000005E74: D89A0000 00005A14
	ds_write_b64 v20, v[94:95] offset:4352                     // 000000005E7C: D89A1100 00005E14
	ds_write_b64 v20, v[98:99] offset:8704                     // 000000005E84: D89A2200 00006214
	ds_write_b64 v20, v[102:103] offset:13056                  // 000000005E8C: D89A3300 00006614
	ds_write_b64 v20, v[106:107] offset:2176                   // 000000005E94: D89A0880 00006A14
	ds_write_b64 v20, v[110:111] offset:6528                   // 000000005E9C: D89A1980 00006E14
	ds_write_b64 v20, v[114:115] offset:10880                  // 000000005EA4: D89A2A80 00007214
	ds_write_b64 v20, v[118:119] offset:15232                  // 000000005EAC: D89A3B80 00007614
	s_waitcnt lgkmcnt(0)                                       // 000000005EB4: BF8CC07F
	s_barrier                                                  // 000000005EB8: BF8A0000
	ds_read_b32 v90, v21                                       // 000000005EBC: D86C0000 5A000015
	ds_read_b32 v91, v21 offset:64                             // 000000005EC4: D86C0040 5B000015
	ds_read_b32 v94, v21 offset:2176                           // 000000005ECC: D86C0880 5E000015
	ds_read_b32 v95, v21 offset:2240                           // 000000005ED4: D86C08C0 5F000015
	ds_read_b32 v98, v21 offset:4352                           // 000000005EDC: D86C1100 62000015
	ds_read_b32 v99, v21 offset:4416                           // 000000005EE4: D86C1140 63000015
	ds_read_b32 v102, v21 offset:6528                          // 000000005EEC: D86C1980 66000015
	ds_read_b32 v103, v21 offset:6592                          // 000000005EF4: D86C19C0 67000015
	ds_read_b32 v106, v21 offset:8704                          // 000000005EFC: D86C2200 6A000015
	ds_read_b32 v107, v21 offset:8768                          // 000000005F04: D86C2240 6B000015
	ds_read_b32 v110, v21 offset:10880                         // 000000005F0C: D86C2A80 6E000015
	ds_read_b32 v111, v21 offset:10944                         // 000000005F14: D86C2AC0 6F000015
	ds_read_b32 v114, v21 offset:13056                         // 000000005F1C: D86C3300 72000015
	ds_read_b32 v115, v21 offset:13120                         // 000000005F24: D86C3340 73000015
	ds_read_b32 v118, v21 offset:15232                         // 000000005F2C: D86C3B80 76000015
	ds_read_b32 v119, v21 offset:15296                         // 000000005F34: D86C3BC0 77000015
	s_waitcnt lgkmcnt(0)                                       // 000000005F3C: BF8CC07F
	v_mov_b32_e32 v7, 0                                        // 000000005F40: 7E0E0280
	s_mov_b64 exec, s[36:37]                                   // 000000005F44: BEFE0124
	v_mov_b32_e32 v6, v44                                      // 000000005F48: 7E0C032C
	s_mov_b64 s[60:61], 0                                      // 000000005F4C: BEBC0180
	v_readlane_b32 s82, v3, 0                                  // 000000005F50: D2890052 00010103
	s_and_b32 s82, s82, 0xffffff                               // 000000005F58: 8652FF52 00FFFFFF
	s_cmp_lt_u32 s82, s66                                      // 000000005F60: BF0A4252
	s_cselect_b32 s20, s36, s60                                // 000000005F64: 85143C24
	v_readlane_b32 s82, v3, 1                                  // 000000005F68: D2890052 00010303
	s_and_b32 s82, s82, 0xffffff                               // 000000005F70: 8652FF52 00FFFFFF
	s_cmp_lt_u32 s82, s66                                      // 000000005F78: BF0A4252
	s_cselect_b32 s21, s36, s60                                // 000000005F7C: 85153C24
	s_mov_b64 exec, s[20:21]                                   // 000000005F80: BEFE0114
	global_atomic_add_f32 v6, v90, s[8:9] offset:8             // 000000005F84: DD348008 00085A06
	global_atomic_add_f32 v6, v94, s[8:9] offset:264           // 000000005F8C: DD348108 00085E06
	s_mov_b64 exec, s[36:37]                                   // 000000005F94: BEFE0124
	v_mov_b32_e32 v6, v45                                      // 000000005F98: 7E0C032D
	s_mov_b64 s[60:61], 0                                      // 000000005F9C: BEBC0180
	v_readlane_b32 s82, v3, 2                                  // 000000005FA0: D2890052 00010503
	s_and_b32 s82, s82, 0xffffff                               // 000000005FA8: 8652FF52 00FFFFFF
	s_cmp_lt_u32 s82, s66                                      // 000000005FB0: BF0A4252
	s_cselect_b32 s20, s36, s60                                // 000000005FB4: 85143C24
	v_readlane_b32 s82, v3, 3                                  // 000000005FB8: D2890052 00010703
	s_and_b32 s82, s82, 0xffffff                               // 000000005FC0: 8652FF52 00FFFFFF
	s_cmp_lt_u32 s82, s66                                      // 000000005FC8: BF0A4252
	s_cselect_b32 s21, s36, s60                                // 000000005FCC: 85153C24
	s_mov_b64 exec, s[20:21]                                   // 000000005FD0: BEFE0114
	global_atomic_add_f32 v6, v91, s[8:9] offset:8             // 000000005FD4: DD348008 00085B06
	global_atomic_add_f32 v6, v95, s[8:9] offset:264           // 000000005FDC: DD348108 00085F06
	s_mov_b64 exec, s[36:37]                                   // 000000005FE4: BEFE0124
	v_mov_b32_e32 v6, v46                                      // 000000005FE8: 7E0C032E
	s_mov_b64 s[60:61], 0                                      // 000000005FEC: BEBC0180
	v_readlane_b32 s82, v3, 4                                  // 000000005FF0: D2890052 00010903
	s_and_b32 s82, s82, 0xffffff                               // 000000005FF8: 8652FF52 00FFFFFF
	s_cmp_lt_u32 s82, s66                                      // 000000006000: BF0A4252
	s_cselect_b32 s20, s36, s60                                // 000000006004: 85143C24
	v_readlane_b32 s82, v3, 5                                  // 000000006008: D2890052 00010B03
	s_and_b32 s82, s82, 0xffffff                               // 000000006010: 8652FF52 00FFFFFF
	s_cmp_lt_u32 s82, s66                                      // 000000006018: BF0A4252
	s_cselect_b32 s21, s36, s60                                // 00000000601C: 85153C24
	s_mov_b64 exec, s[20:21]                                   // 000000006020: BEFE0114
	global_atomic_add_f32 v6, v98, s[8:9] offset:8             // 000000006024: DD348008 00086206
	global_atomic_add_f32 v6, v102, s[8:9] offset:264          // 00000000602C: DD348108 00086606
	s_mov_b64 exec, s[36:37]                                   // 000000006034: BEFE0124
	v_mov_b32_e32 v6, v47                                      // 000000006038: 7E0C032F
	s_mov_b64 s[60:61], 0                                      // 00000000603C: BEBC0180
	v_readlane_b32 s82, v3, 6                                  // 000000006040: D2890052 00010D03
	s_and_b32 s82, s82, 0xffffff                               // 000000006048: 8652FF52 00FFFFFF
	s_cmp_lt_u32 s82, s66                                      // 000000006050: BF0A4252
	s_cselect_b32 s20, s36, s60                                // 000000006054: 85143C24
	v_readlane_b32 s82, v3, 7                                  // 000000006058: D2890052 00010F03
	s_and_b32 s82, s82, 0xffffff                               // 000000006060: 8652FF52 00FFFFFF
	s_cmp_lt_u32 s82, s66                                      // 000000006068: BF0A4252
	s_cselect_b32 s21, s36, s60                                // 00000000606C: 85153C24
	s_mov_b64 exec, s[20:21]                                   // 000000006070: BEFE0114
	global_atomic_add_f32 v6, v99, s[8:9] offset:8             // 000000006074: DD348008 00086306
	global_atomic_add_f32 v6, v103, s[8:9] offset:264          // 00000000607C: DD348108 00086706
	s_mov_b64 exec, s[36:37]                                   // 000000006084: BEFE0124
	v_mov_b32_e32 v6, v48                                      // 000000006088: 7E0C0330
	s_mov_b64 s[60:61], 0                                      // 00000000608C: BEBC0180
	v_readlane_b32 s82, v3, 8                                  // 000000006090: D2890052 00011103
	s_and_b32 s82, s82, 0xffffff                               // 000000006098: 8652FF52 00FFFFFF
	s_cmp_lt_u32 s82, s66                                      // 0000000060A0: BF0A4252
	s_cselect_b32 s20, s36, s60                                // 0000000060A4: 85143C24
	v_readlane_b32 s82, v3, 9                                  // 0000000060A8: D2890052 00011303
	s_and_b32 s82, s82, 0xffffff                               // 0000000060B0: 8652FF52 00FFFFFF
	s_cmp_lt_u32 s82, s66                                      // 0000000060B8: BF0A4252
	s_cselect_b32 s21, s36, s60                                // 0000000060BC: 85153C24
	s_mov_b64 exec, s[20:21]                                   // 0000000060C0: BEFE0114
	global_atomic_add_f32 v6, v106, s[8:9] offset:8            // 0000000060C4: DD348008 00086A06
	global_atomic_add_f32 v6, v110, s[8:9] offset:264          // 0000000060CC: DD348108 00086E06
	s_mov_b64 exec, s[36:37]                                   // 0000000060D4: BEFE0124
	v_mov_b32_e32 v6, v49                                      // 0000000060D8: 7E0C0331
	s_mov_b64 s[60:61], 0                                      // 0000000060DC: BEBC0180
	v_readlane_b32 s82, v3, 10                                 // 0000000060E0: D2890052 00011503
	s_and_b32 s82, s82, 0xffffff                               // 0000000060E8: 8652FF52 00FFFFFF
	s_cmp_lt_u32 s82, s66                                      // 0000000060F0: BF0A4252
	s_cselect_b32 s20, s36, s60                                // 0000000060F4: 85143C24
	v_readlane_b32 s82, v3, 11                                 // 0000000060F8: D2890052 00011703
	s_and_b32 s82, s82, 0xffffff                               // 000000006100: 8652FF52 00FFFFFF
	s_cmp_lt_u32 s82, s66                                      // 000000006108: BF0A4252
	s_cselect_b32 s21, s36, s60                                // 00000000610C: 85153C24
	s_mov_b64 exec, s[20:21]                                   // 000000006110: BEFE0114
	global_atomic_add_f32 v6, v107, s[8:9] offset:8            // 000000006114: DD348008 00086B06
	global_atomic_add_f32 v6, v111, s[8:9] offset:264          // 00000000611C: DD348108 00086F06
	s_mov_b64 exec, s[36:37]                                   // 000000006124: BEFE0124
	v_mov_b32_e32 v6, v50                                      // 000000006128: 7E0C0332
	s_mov_b64 s[60:61], 0                                      // 00000000612C: BEBC0180
	v_readlane_b32 s82, v3, 12                                 // 000000006130: D2890052 00011903
	s_and_b32 s82, s82, 0xffffff                               // 000000006138: 8652FF52 00FFFFFF
	s_cmp_lt_u32 s82, s66                                      // 000000006140: BF0A4252
	s_cselect_b32 s20, s36, s60                                // 000000006144: 85143C24
	v_readlane_b32 s82, v3, 13                                 // 000000006148: D2890052 00011B03
	s_and_b32 s82, s82, 0xffffff                               // 000000006150: 8652FF52 00FFFFFF
	s_cmp_lt_u32 s82, s66                                      // 000000006158: BF0A4252
	s_cselect_b32 s21, s36, s60                                // 00000000615C: 85153C24
	s_mov_b64 exec, s[20:21]                                   // 000000006160: BEFE0114
	global_atomic_add_f32 v6, v114, s[8:9] offset:8            // 000000006164: DD348008 00087206
	global_atomic_add_f32 v6, v118, s[8:9] offset:264          // 00000000616C: DD348108 00087606
	s_mov_b64 exec, s[36:37]                                   // 000000006174: BEFE0124
	v_mov_b32_e32 v6, v51                                      // 000000006178: 7E0C0333
	s_mov_b64 s[60:61], 0                                      // 00000000617C: BEBC0180
	v_readlane_b32 s82, v3, 14                                 // 000000006180: D2890052 00011D03
	s_and_b32 s82, s82, 0xffffff                               // 000000006188: 8652FF52 00FFFFFF
	s_cmp_lt_u32 s82, s66                                      // 000000006190: BF0A4252
	s_cselect_b32 s20, s36, s60                                // 000000006194: 85143C24
	v_readlane_b32 s82, v3, 15                                 // 000000006198: D2890052 00011F03
	s_and_b32 s82, s82, 0xffffff                               // 0000000061A0: 8652FF52 00FFFFFF
	s_cmp_lt_u32 s82, s66                                      // 0000000061A8: BF0A4252
	s_cselect_b32 s21, s36, s60                                // 0000000061AC: 85153C24
	s_mov_b64 exec, s[20:21]                                   // 0000000061B0: BEFE0114
	global_atomic_add_f32 v6, v115, s[8:9] offset:8            // 0000000061B4: DD348008 00087306
	global_atomic_add_f32 v6, v119, s[8:9] offset:264          // 0000000061BC: DD348108 00087706
	s_mov_b64 exec, s[36:37]                                   // 0000000061C4: BEFE0124
	s_branch label_198C                                        // 0000000061C8: BF820B96

00000000000061cc <label_0DF6>:
	s_waitcnt vmcnt(2) lgkmcnt(0)                              // 0000000061CC: BF8C0072
	s_barrier                                                  // 0000000061D0: BF8A0000
	v_mfma_i32_16x16x32_i8 v[56:59], a[64:65], a[0:1], v[56:59]// 0000000061D4: D3D70038 1CE20140
	buffer_load_dwordx4 a[80:83], v52, s[84:87], 0 offen       // 0000000061DC: E05C1000 80955034
	v_mfma_i32_16x16x32_i8 v[56:59], a[66:67], a[2:3], v[56:59]// 0000000061E4: D3D70038 1CE20542
	v_mfma_i32_16x16x32_i8 v[56:59], a[68:69], a[4:5], v[56:59]// 0000000061EC: D3D70038 1CE20944
	v_mfma_i32_16x16x32_i8 v[56:59], a[70:71], a[6:7], v[56:59]// 0000000061F4: D3D70038 1CE20D46
	v_mfma_i32_16x16x32_i8 v[60:63], a[64:65], a[8:9], v[60:63]// 0000000061FC: D3D7003C 1CF21140
	buffer_load_dwordx4 a[84:87], v52, s[84:87], 0 offen offset:1024// 000000006204: E05C1400 80955434
	v_mfma_i32_16x16x32_i8 v[60:63], a[66:67], a[10:11], v[60:63]// 00000000620C: D3D7003C 1CF21542
	v_mfma_i32_16x16x32_i8 v[60:63], a[68:69], a[12:13], v[60:63]// 000000006214: D3D7003C 1CF21944
	v_mfma_i32_16x16x32_i8 v[60:63], a[70:71], a[14:15], v[60:63]// 00000000621C: D3D7003C 1CF21D46
	v_mfma_i32_16x16x32_i8 v[64:67], a[64:65], a[16:17], v[64:67]// 000000006224: D3D70040 1D022140
	buffer_load_dwordx4 a[88:91], v53, s[84:87], 0 offen       // 00000000622C: E05C1000 80955835
	v_mfma_i32_16x16x32_i8 v[64:67], a[66:67], a[18:19], v[64:67]// 000000006234: D3D70040 1D022542
	v_mfma_i32_16x16x32_i8 v[64:67], a[68:69], a[20:21], v[64:67]// 00000000623C: D3D70040 1D022944
	v_mfma_i32_16x16x32_i8 v[64:67], a[70:71], a[22:23], v[64:67]// 000000006244: D3D70040 1D022D46
	v_mfma_i32_16x16x32_i8 v[68:71], a[64:65], a[24:25], v[68:71]// 00000000624C: D3D70044 1D123140
	buffer_load_dwordx4 a[92:95], v53, s[84:87], 0 offen offset:1024// 000000006254: E05C1400 80955C35
	buffer_load_dword v44, s[20:23], 0 offen lds               // 00000000625C: E0511000 8005002C
	s_add_u32 m0, 0x100, s48                                   // 000000006264: 807C30FF 00000100
	v_mfma_i32_16x16x32_i8 v[68:71], a[66:67], a[26:27], v[68:71]// 00000000626C: D3D70044 1D123542
	v_mfma_i32_16x16x32_i8 v[68:71], a[68:69], a[28:29], v[68:71]// 000000006274: D3D70044 1D123944
	buffer_load_dword v45, s[20:23], 0 offen lds               // 00000000627C: E0511000 8005002D
	s_add_u32 m0, 0x200, s48                                   // 000000006284: 807C30FF 00000200
	v_mfma_i32_16x16x32_i8 v[68:71], a[70:71], a[30:31], v[68:71]// 00000000628C: D3D70044 1D123D46
	s_waitcnt vmcnt(6)                                         // 000000006294: BF8C0F76
	v_mfma_i32_16x16x32_i8 v[72:75], a[72:73], a[0:1], v[72:75]// 000000006298: D3D70048 1D220148
	buffer_load_dword v46, s[20:23], 0 offen lds               // 0000000062A0: E0511000 8005002E
	s_add_u32 m0, 0x300, s48                                   // 0000000062A8: 807C30FF 00000300
	v_mfma_i32_16x16x32_i8 v[72:75], a[74:75], a[2:3], v[72:75]// 0000000062B0: D3D70048 1D22054A
	v_mfma_i32_16x16x32_i8 v[72:75], a[76:77], a[4:5], v[72:75]// 0000000062B8: D3D70048 1D22094C
	buffer_load_dword v47, s[20:23], 0 offen lds               // 0000000062C0: E0511000 8005002F
	s_add_u32 m0, 0x400, s48                                   // 0000000062C8: 807C30FF 00000400
	v_mfma_i32_16x16x32_i8 v[72:75], a[78:79], a[6:7], v[72:75]// 0000000062D0: D3D70048 1D220D4E
	v_mfma_i32_16x16x32_i8 v[76:79], a[72:73], a[8:9], v[76:79]// 0000000062D8: D3D7004C 1D321148
	buffer_load_dword v48, s[20:23], 0 offen lds               // 0000000062E0: E0511000 80050030
	s_add_u32 m0, 0x500, s48                                   // 0000000062E8: 807C30FF 00000500
	v_mfma_i32_16x16x32_i8 v[76:79], a[74:75], a[10:11], v[76:79]// 0000000062F0: D3D7004C 1D32154A
	v_mfma_i32_16x16x32_i8 v[76:79], a[76:77], a[12:13], v[76:79]// 0000000062F8: D3D7004C 1D32194C
	buffer_load_dword v49, s[20:23], 0 offen lds               // 000000006300: E0511000 80050031
	s_add_u32 m0, 0x600, s48                                   // 000000006308: 807C30FF 00000600
	v_mfma_i32_16x16x32_i8 v[76:79], a[78:79], a[14:15], v[76:79]// 000000006310: D3D7004C 1D321D4E
	v_mfma_i32_16x16x32_i8 v[80:83], a[72:73], a[16:17], v[80:83]// 000000006318: D3D70050 1D422148
	buffer_load_dword v50, s[20:23], 0 offen lds               // 000000006320: E0511000 80050032
	s_add_u32 m0, 0x700, s48                                   // 000000006328: 807C30FF 00000700
	v_mfma_i32_16x16x32_i8 v[80:83], a[74:75], a[18:19], v[80:83]// 000000006330: D3D70050 1D42254A
	v_mfma_i32_16x16x32_i8 v[80:83], a[76:77], a[20:21], v[80:83]// 000000006338: D3D70050 1D42294C
	buffer_load_dword v51, s[20:23], 0 offen lds               // 000000006340: E0511000 80050033
	s_add_u32 m0, 0, s49                                       // 000000006348: 807C3180
	v_mfma_i32_16x16x32_i8 v[80:83], a[78:79], a[22:23], v[80:83]// 00000000634C: D3D70050 1D422D4E
	v_mfma_i32_16x16x32_i8 v[84:87], a[72:73], a[24:25], v[84:87]// 000000006354: D3D70054 1D523148
	v_mfma_i32_16x16x32_i8 v[84:87], a[74:75], a[26:27], v[84:87]// 00000000635C: D3D70054 1D52354A
	s_add_u32 s60, 0x80, s80                                   // 000000006364: 803C50FF 00000080
	s_cmp_lt_u32 s60, s81                                      // 00000000636C: BF0A513C
	s_cselect_b32 s83, s83, 0                                  // 000000006370: 85538053
	v_mfma_i32_16x16x32_i8 v[84:87], a[76:77], a[28:29], v[84:87]// 000000006374: D3D70054 1D52394C
	v_mfma_i32_16x16x32_i8 v[84:87], a[78:79], a[30:31], v[84:87]// 00000000637C: D3D70054 1D523D4E
	s_waitcnt vmcnt(8)                                         // 000000006384: BF8C0F78
	v_mfma_i32_16x16x32_i8 v[88:91], a[80:81], a[0:1], v[88:91]// 000000006388: D3D70058 1D620150
	buffer_load_dwordx4 a[64:67], v52, s[24:27], 0 offen       // 000000006390: E05C1000 80864034
	v_mfma_i32_16x16x32_i8 v[88:91], a[82:83], a[2:3], v[88:91]// 000000006398: D3D70058 1D620552
	v_mfma_i32_16x16x32_i8 v[88:91], a[84:85], a[4:5], v[88:91]// 0000000063A0: D3D70058 1D620954
	ds_read_b128 a[32:35], v2 offset:8320                      // 0000000063A8: DBFE2080 20000002
	ds_read_b128 a[36:39], v2 offset:8384                      // 0000000063B0: DBFE20C0 24000002
	v_mfma_i32_16x16x32_i8 v[88:91], a[86:87], a[6:7], v[88:91]// 0000000063B8: D3D70058 1D620D56
	v_mfma_i32_16x16x32_i8 v[104:107], a[88:89], a[0:1], v[104:107]// 0000000063C0: D3D70068 1DA20158
	buffer_load_dwordx4 a[68:71], v52, s[24:27], 0 offen offset:1024// 0000000063C8: E05C1400 80864434
	v_mfma_i32_16x16x32_i8 v[104:107], a[90:91], a[2:3], v[104:107]// 0000000063D0: D3D70068 1DA2055A
	v_mfma_i32_16x16x32_i8 v[104:107], a[92:93], a[4:5], v[104:107]// 0000000063D8: D3D70068 1DA2095C
	ds_read_b128 a[40:43], v2 offset:8832                      // 0000000063E0: DBFE2280 28000002
	ds_read_b128 a[44:47], v2 offset:8896                      // 0000000063E8: DBFE22C0 2C000002
	v_mfma_i32_16x16x32_i8 v[104:107], a[94:95], a[6:7], v[104:107]// 0000000063F0: D3D70068 1DA20D5E
	v_mfma_i32_16x16x32_i8 v[92:95], a[80:81], a[8:9], v[92:95]// 0000000063F8: D3D7005C 1D721150
	buffer_load_dwordx4 a[72:75], v53, s[24:27], 0 offen       // 000000006400: E05C1000 80864835
	v_mfma_i32_16x16x32_i8 v[92:95], a[82:83], a[10:11], v[92:95]// 000000006408: D3D7005C 1D721552
	v_mfma_i32_16x16x32_i8 v[92:95], a[84:85], a[12:13], v[92:95]// 000000006410: D3D7005C 1D721954
	ds_read_b128 a[48:51], v2 offset:9344                      // 000000006418: DBFE2480 30000002
	ds_read_b128 a[52:55], v2 offset:9408                      // 000000006420: DBFE24C0 34000002
	v_mfma_i32_16x16x32_i8 v[92:95], a[86:87], a[14:15], v[92:95]// 000000006428: D3D7005C 1D721D56
	v_mfma_i32_16x16x32_i8 v[108:111], a[88:89], a[8:9], v[108:111]// 000000006430: D3D7006C 1DB21158
	buffer_load_dwordx4 a[76:79], v53, s[24:27], 0 offen offset:1024// 000000006438: E05C1400 80864C35
	v_mfma_i32_16x16x32_i8 v[108:111], a[90:91], a[10:11], v[108:111]// 000000006440: D3D7006C 1DB2155A
	v_mfma_i32_16x16x32_i8 v[108:111], a[92:93], a[12:13], v[108:111]// 000000006448: D3D7006C 1DB2195C
	ds_read_b128 a[56:59], v2 offset:9856                      // 000000006450: DBFE2680 38000002
	ds_read_b128 a[60:63], v2 offset:9920                      // 000000006458: DBFE26C0 3C000002
	v_mfma_i32_16x16x32_i8 v[108:111], a[94:95], a[14:15], v[108:111]// 000000006460: D3D7006C 1DB21D5E
	v_mfma_i32_16x16x32_i8 v[96:99], a[80:81], a[16:17], v[96:99]// 000000006468: D3D70060 1D822150
	v_mfma_i32_16x16x32_i8 v[96:99], a[82:83], a[18:19], v[96:99]// 000000006470: D3D70060 1D822552
	v_mfma_i32_16x16x32_i8 v[96:99], a[84:85], a[20:21], v[96:99]// 000000006478: D3D70060 1D822954
	v_mfma_i32_16x16x32_i8 v[96:99], a[86:87], a[22:23], v[96:99]// 000000006480: D3D70060 1D822D56
	v_mfma_i32_16x16x32_i8 v[112:115], a[88:89], a[16:17], v[112:115]// 000000006488: D3D70070 1DC22158
	v_mfma_i32_16x16x32_i8 v[112:115], a[90:91], a[18:19], v[112:115]// 000000006490: D3D70070 1DC2255A
	v_mfma_i32_16x16x32_i8 v[112:115], a[92:93], a[20:21], v[112:115]// 000000006498: D3D70070 1DC2295C
	v_mfma_i32_16x16x32_i8 v[112:115], a[94:95], a[22:23], v[112:115]// 0000000064A0: D3D70070 1DC22D5E
	v_mfma_i32_16x16x32_i8 v[100:103], a[80:81], a[24:25], v[100:103]// 0000000064A8: D3D70064 1D923150
	v_mfma_i32_16x16x32_i8 v[100:103], a[82:83], a[26:27], v[100:103]// 0000000064B0: D3D70064 1D923552
	v_mfma_i32_16x16x32_i8 v[100:103], a[84:85], a[28:29], v[100:103]// 0000000064B8: D3D70064 1D923954
	s_add_u32 s60, 0x180, s80                                  // 0000000064C0: 803C50FF 00000180
	s_cmp_lt_u32 s60, s81                                      // 0000000064C8: BF0A513C
	s_cselect_b32 s57, s57, 0                                  // 0000000064CC: 85398039
	v_mfma_i32_16x16x32_i8 v[100:103], a[86:87], a[30:31], v[100:103]// 0000000064D0: D3D70064 1D923D56
	s_add_u32 s60, 0x100, s80                                  // 0000000064D8: 803C50FF 00000100
	s_cmp_lt_u32 s60, s81                                      // 0000000064E0: BF0A513C
	s_cselect_b32 s58, s58, 0                                  // 0000000064E4: 853A803A
	v_mfma_i32_16x16x32_i8 v[116:119], a[88:89], a[24:25], v[116:119]// 0000000064E8: D3D70074 1DD23158
	s_add_u32 s24, s58, s24                                    // 0000000064F0: 8018183A
	s_addc_u32 s25, 0, s25                                     // 0000000064F4: 82191980
	v_mfma_i32_16x16x32_i8 v[116:119], a[90:91], a[26:27], v[116:119]// 0000000064F8: D3D70074 1DD2355A
	s_add_u32 s20, s57, s20                                    // 000000006500: 80141439
	s_addc_u32 s21, 0, s21                                     // 000000006504: 82151580
	v_mfma_i32_16x16x32_i8 v[116:119], a[92:93], a[28:29], v[116:119]// 000000006508: D3D70074 1DD2395C
	s_add_u32 s84, s83, s84                                    // 000000006510: 80545453
	s_addc_u32 s85, 0, s85                                     // 000000006514: 82555580
	v_mfma_i32_16x16x32_i8 v[116:119], a[94:95], a[30:31], v[116:119]// 000000006518: D3D70074 1DD23D5E
	s_addk_i32 s80, 0x80                                       // 000000006520: B7500080
	s_cmp_lt_i32 s80, s81                                      // 000000006524: BF045150
	s_cbranch_scc0 label_0FA7                                  // 000000006528: BF8400D9
	s_waitcnt vmcnt(2) lgkmcnt(0)                              // 00000000652C: BF8C0072
	s_barrier                                                  // 000000006530: BF8A0000
	v_mfma_i32_16x16x32_i8 v[56:59], a[64:65], a[32:33], v[56:59]// 000000006534: D3D70038 1CE24140
	buffer_load_dwordx4 a[80:83], v52, s[84:87], 0 offen       // 00000000653C: E05C1000 80955034
	v_mfma_i32_16x16x32_i8 v[56:59], a[66:67], a[34:35], v[56:59]// 000000006544: D3D70038 1CE24542
	v_mfma_i32_16x16x32_i8 v[56:59], a[68:69], a[36:37], v[56:59]// 00000000654C: D3D70038 1CE24944
	v_mfma_i32_16x16x32_i8 v[56:59], a[70:71], a[38:39], v[56:59]// 000000006554: D3D70038 1CE24D46
	v_mfma_i32_16x16x32_i8 v[60:63], a[64:65], a[40:41], v[60:63]// 00000000655C: D3D7003C 1CF25140
	buffer_load_dwordx4 a[84:87], v52, s[84:87], 0 offen offset:1024// 000000006564: E05C1400 80955434
	v_mfma_i32_16x16x32_i8 v[60:63], a[66:67], a[42:43], v[60:63]// 00000000656C: D3D7003C 1CF25542
	v_mfma_i32_16x16x32_i8 v[60:63], a[68:69], a[44:45], v[60:63]// 000000006574: D3D7003C 1CF25944
	v_mfma_i32_16x16x32_i8 v[60:63], a[70:71], a[46:47], v[60:63]// 00000000657C: D3D7003C 1CF25D46
	v_mfma_i32_16x16x32_i8 v[64:67], a[64:65], a[48:49], v[64:67]// 000000006584: D3D70040 1D026140
	buffer_load_dwordx4 a[88:91], v53, s[84:87], 0 offen       // 00000000658C: E05C1000 80955835
	v_mfma_i32_16x16x32_i8 v[64:67], a[66:67], a[50:51], v[64:67]// 000000006594: D3D70040 1D026542
	v_mfma_i32_16x16x32_i8 v[64:67], a[68:69], a[52:53], v[64:67]// 00000000659C: D3D70040 1D026944
	v_mfma_i32_16x16x32_i8 v[64:67], a[70:71], a[54:55], v[64:67]// 0000000065A4: D3D70040 1D026D46
	v_mfma_i32_16x16x32_i8 v[68:71], a[64:65], a[56:57], v[68:71]// 0000000065AC: D3D70044 1D127140
	buffer_load_dwordx4 a[92:95], v53, s[84:87], 0 offen offset:1024// 0000000065B4: E05C1400 80955C35
	buffer_load_dword v44, s[20:23], 0 offen lds               // 0000000065BC: E0511000 8005002C
	s_add_u32 m0, 0x100, s49                                   // 0000000065C4: 807C31FF 00000100
	v_mfma_i32_16x16x32_i8 v[68:71], a[66:67], a[58:59], v[68:71]// 0000000065CC: D3D70044 1D127542
	v_mfma_i32_16x16x32_i8 v[68:71], a[68:69], a[60:61], v[68:71]// 0000000065D4: D3D70044 1D127944
	buffer_load_dword v45, s[20:23], 0 offen lds               // 0000000065DC: E0511000 8005002D
	s_add_u32 m0, 0x200, s49                                   // 0000000065E4: 807C31FF 00000200
	v_mfma_i32_16x16x32_i8 v[68:71], a[70:71], a[62:63], v[68:71]// 0000000065EC: D3D70044 1D127D46
	s_waitcnt vmcnt(6)                                         // 0000000065F4: BF8C0F76
	v_mfma_i32_16x16x32_i8 v[72:75], a[72:73], a[32:33], v[72:75]// 0000000065F8: D3D70048 1D224148
	buffer_load_dword v46, s[20:23], 0 offen lds               // 000000006600: E0511000 8005002E
	s_add_u32 m0, 0x300, s49                                   // 000000006608: 807C31FF 00000300
	v_mfma_i32_16x16x32_i8 v[72:75], a[74:75], a[34:35], v[72:75]// 000000006610: D3D70048 1D22454A
	v_mfma_i32_16x16x32_i8 v[72:75], a[76:77], a[36:37], v[72:75]// 000000006618: D3D70048 1D22494C
	buffer_load_dword v47, s[20:23], 0 offen lds               // 000000006620: E0511000 8005002F
	s_add_u32 m0, 0x400, s49                                   // 000000006628: 807C31FF 00000400
	v_mfma_i32_16x16x32_i8 v[72:75], a[78:79], a[38:39], v[72:75]// 000000006630: D3D70048 1D224D4E
	v_mfma_i32_16x16x32_i8 v[76:79], a[72:73], a[40:41], v[76:79]// 000000006638: D3D7004C 1D325148
	buffer_load_dword v48, s[20:23], 0 offen lds               // 000000006640: E0511000 80050030
	s_add_u32 m0, 0x500, s49                                   // 000000006648: 807C31FF 00000500
	v_mfma_i32_16x16x32_i8 v[76:79], a[74:75], a[42:43], v[76:79]// 000000006650: D3D7004C 1D32554A
	v_mfma_i32_16x16x32_i8 v[76:79], a[76:77], a[44:45], v[76:79]// 000000006658: D3D7004C 1D32594C
	buffer_load_dword v49, s[20:23], 0 offen lds               // 000000006660: E0511000 80050031
	s_add_u32 m0, 0x600, s49                                   // 000000006668: 807C31FF 00000600
	v_mfma_i32_16x16x32_i8 v[76:79], a[78:79], a[46:47], v[76:79]// 000000006670: D3D7004C 1D325D4E
	v_mfma_i32_16x16x32_i8 v[80:83], a[72:73], a[48:49], v[80:83]// 000000006678: D3D70050 1D426148
	buffer_load_dword v50, s[20:23], 0 offen lds               // 000000006680: E0511000 80050032
	s_add_u32 m0, 0x700, s49                                   // 000000006688: 807C31FF 00000700
	v_mfma_i32_16x16x32_i8 v[80:83], a[74:75], a[50:51], v[80:83]// 000000006690: D3D70050 1D42654A
	v_mfma_i32_16x16x32_i8 v[80:83], a[76:77], a[52:53], v[80:83]// 000000006698: D3D70050 1D42694C
	buffer_load_dword v51, s[20:23], 0 offen lds               // 0000000066A0: E0511000 80050033
	s_add_u32 m0, 0, s48                                       // 0000000066A8: 807C3080
	v_mfma_i32_16x16x32_i8 v[80:83], a[78:79], a[54:55], v[80:83]// 0000000066AC: D3D70050 1D426D4E
	v_mfma_i32_16x16x32_i8 v[84:87], a[72:73], a[56:57], v[84:87]// 0000000066B4: D3D70054 1D527148
	v_mfma_i32_16x16x32_i8 v[84:87], a[74:75], a[58:59], v[84:87]// 0000000066BC: D3D70054 1D52754A
	s_add_u32 s60, 0x80, s80                                   // 0000000066C4: 803C50FF 00000080
	s_cmp_lt_u32 s60, s81                                      // 0000000066CC: BF0A513C
	s_cselect_b32 s83, s83, 0                                  // 0000000066D0: 85538053
	v_mfma_i32_16x16x32_i8 v[84:87], a[76:77], a[60:61], v[84:87]// 0000000066D4: D3D70054 1D52794C
	v_mfma_i32_16x16x32_i8 v[84:87], a[78:79], a[62:63], v[84:87]// 0000000066DC: D3D70054 1D527D4E
	s_waitcnt vmcnt(8)                                         // 0000000066E4: BF8C0F78
	v_mfma_i32_16x16x32_i8 v[88:91], a[80:81], a[32:33], v[88:91]// 0000000066E8: D3D70058 1D624150
	buffer_load_dwordx4 a[64:67], v52, s[24:27], 0 offen       // 0000000066F0: E05C1000 80864034
	v_mfma_i32_16x16x32_i8 v[88:91], a[82:83], a[34:35], v[88:91]// 0000000066F8: D3D70058 1D624552
	v_mfma_i32_16x16x32_i8 v[88:91], a[84:85], a[36:37], v[88:91]// 000000006700: D3D70058 1D624954
	ds_read_b128 a[0:3], v2                                    // 000000006708: DBFE0000 00000002
	ds_read_b128 a[4:7], v2 offset:64                          // 000000006710: DBFE0040 04000002
	v_mfma_i32_16x16x32_i8 v[88:91], a[86:87], a[38:39], v[88:91]// 000000006718: D3D70058 1D624D56
	v_mfma_i32_16x16x32_i8 v[104:107], a[88:89], a[32:33], v[104:107]// 000000006720: D3D70068 1DA24158
	buffer_load_dwordx4 a[68:71], v52, s[24:27], 0 offen offset:1024// 000000006728: E05C1400 80864434
	v_mfma_i32_16x16x32_i8 v[104:107], a[90:91], a[34:35], v[104:107]// 000000006730: D3D70068 1DA2455A
	v_mfma_i32_16x16x32_i8 v[104:107], a[92:93], a[36:37], v[104:107]// 000000006738: D3D70068 1DA2495C
	ds_read_b128 a[8:11], v2 offset:512                        // 000000006740: DBFE0200 08000002
	ds_read_b128 a[12:15], v2 offset:576                       // 000000006748: DBFE0240 0C000002
	v_mfma_i32_16x16x32_i8 v[104:107], a[94:95], a[38:39], v[104:107]// 000000006750: D3D70068 1DA24D5E
	v_mfma_i32_16x16x32_i8 v[92:95], a[80:81], a[40:41], v[92:95]// 000000006758: D3D7005C 1D725150
	buffer_load_dwordx4 a[72:75], v53, s[24:27], 0 offen       // 000000006760: E05C1000 80864835
	v_mfma_i32_16x16x32_i8 v[92:95], a[82:83], a[42:43], v[92:95]// 000000006768: D3D7005C 1D725552
	v_mfma_i32_16x16x32_i8 v[92:95], a[84:85], a[44:45], v[92:95]// 000000006770: D3D7005C 1D725954
	ds_read_b128 a[16:19], v2 offset:1024                      // 000000006778: DBFE0400 10000002
	ds_read_b128 a[20:23], v2 offset:1088                      // 000000006780: DBFE0440 14000002
	v_mfma_i32_16x16x32_i8 v[92:95], a[86:87], a[46:47], v[92:95]// 000000006788: D3D7005C 1D725D56
	v_mfma_i32_16x16x32_i8 v[108:111], a[88:89], a[40:41], v[108:111]// 000000006790: D3D7006C 1DB25158
	buffer_load_dwordx4 a[76:79], v53, s[24:27], 0 offen offset:1024// 000000006798: E05C1400 80864C35
	v_mfma_i32_16x16x32_i8 v[108:111], a[90:91], a[42:43], v[108:111]// 0000000067A0: D3D7006C 1DB2555A
	v_mfma_i32_16x16x32_i8 v[108:111], a[92:93], a[44:45], v[108:111]// 0000000067A8: D3D7006C 1DB2595C
	ds_read_b128 a[24:27], v2 offset:1536                      // 0000000067B0: DBFE0600 18000002
	ds_read_b128 a[28:31], v2 offset:1600                      // 0000000067B8: DBFE0640 1C000002
	v_mfma_i32_16x16x32_i8 v[108:111], a[94:95], a[46:47], v[108:111]// 0000000067C0: D3D7006C 1DB25D5E
	v_mfma_i32_16x16x32_i8 v[96:99], a[80:81], a[48:49], v[96:99]// 0000000067C8: D3D70060 1D826150
	v_mfma_i32_16x16x32_i8 v[96:99], a[82:83], a[50:51], v[96:99]// 0000000067D0: D3D70060 1D826552
	v_mfma_i32_16x16x32_i8 v[96:99], a[84:85], a[52:53], v[96:99]// 0000000067D8: D3D70060 1D826954
	v_mfma_i32_16x16x32_i8 v[96:99], a[86:87], a[54:55], v[96:99]// 0000000067E0: D3D70060 1D826D56
	v_mfma_i32_16x16x32_i8 v[112:115], a[88:89], a[48:49], v[112:115]// 0000000067E8: D3D70070 1DC26158
	v_mfma_i32_16x16x32_i8 v[112:115], a[90:91], a[50:51], v[112:115]// 0000000067F0: D3D70070 1DC2655A
	v_mfma_i32_16x16x32_i8 v[112:115], a[92:93], a[52:53], v[112:115]// 0000000067F8: D3D70070 1DC2695C
	v_mfma_i32_16x16x32_i8 v[112:115], a[94:95], a[54:55], v[112:115]// 000000006800: D3D70070 1DC26D5E
	v_mfma_i32_16x16x32_i8 v[100:103], a[80:81], a[56:57], v[100:103]// 000000006808: D3D70064 1D927150
	v_mfma_i32_16x16x32_i8 v[100:103], a[82:83], a[58:59], v[100:103]// 000000006810: D3D70064 1D927552
	v_mfma_i32_16x16x32_i8 v[100:103], a[84:85], a[60:61], v[100:103]// 000000006818: D3D70064 1D927954
	s_add_u32 s60, 0x180, s80                                  // 000000006820: 803C50FF 00000180
	s_cmp_lt_u32 s60, s81                                      // 000000006828: BF0A513C
	s_cselect_b32 s57, s57, 0                                  // 00000000682C: 85398039
	v_mfma_i32_16x16x32_i8 v[100:103], a[86:87], a[62:63], v[100:103]// 000000006830: D3D70064 1D927D56
	s_add_u32 s60, 0x100, s80                                  // 000000006838: 803C50FF 00000100
	s_cmp_lt_u32 s60, s81                                      // 000000006840: BF0A513C
	s_cselect_b32 s58, s58, 0                                  // 000000006844: 853A803A
	v_mfma_i32_16x16x32_i8 v[116:119], a[88:89], a[56:57], v[116:119]// 000000006848: D3D70074 1DD27158
	s_add_u32 s24, s58, s24                                    // 000000006850: 8018183A
	s_addc_u32 s25, 0, s25                                     // 000000006854: 82191980
	v_mfma_i32_16x16x32_i8 v[116:119], a[90:91], a[58:59], v[116:119]// 000000006858: D3D70074 1DD2755A
	s_add_u32 s20, s57, s20                                    // 000000006860: 80141439
	s_addc_u32 s21, 0, s21                                     // 000000006864: 82151580
	v_mfma_i32_16x16x32_i8 v[116:119], a[92:93], a[60:61], v[116:119]// 000000006868: D3D70074 1DD2795C
	s_add_u32 s84, s83, s84                                    // 000000006870: 80545453
	s_addc_u32 s85, 0, s85                                     // 000000006874: 82555580
	v_mfma_i32_16x16x32_i8 v[116:119], a[94:95], a[62:63], v[116:119]// 000000006878: D3D70074 1DD27D5E
	s_addk_i32 s80, 0x80                                       // 000000006880: B7500080
	s_cmp_lt_i32 s80, s81                                      // 000000006884: BF045150
	s_cbranch_scc0 label_0FA7                                  // 000000006888: BF840001
	s_branch label_0DF6                                        // 00000000688C: BF82FE4F

0000000000006890 <label_0FA7>:
	v_cvt_f32_i32_e32 v56, v56                                 // 000000006890: 7E700B38
	v_cvt_f32_i32_e32 v57, v57                                 // 000000006894: 7E720B39
	v_cvt_f32_i32_e32 v58, v58                                 // 000000006898: 7E740B3A
	v_cvt_f32_i32_e32 v59, v59                                 // 00000000689C: 7E760B3B
	v_mul_f32_dpp v56, v24, v56 row_newbcast:0 row_mask:0xf bank_mask:0xf// 0000000068A0: 0A7070FA FF015018
	v_mul_f32_dpp v57, v24, v57 row_newbcast:1 row_mask:0xf bank_mask:0xf// 0000000068A8: 0A7272FA FF015118
	v_mul_f32_dpp v58, v24, v58 row_newbcast:2 row_mask:0xf bank_mask:0xf// 0000000068B0: 0A7474FA FF015218
	v_mul_f32_dpp v59, v24, v59 row_newbcast:3 row_mask:0xf bank_mask:0xf// 0000000068B8: 0A7676FA FF015318
	v_cvt_f32_i32_e32 v60, v60                                 // 0000000068C0: 7E780B3C
	v_cvt_f32_i32_e32 v61, v61                                 // 0000000068C4: 7E7A0B3D
	v_cvt_f32_i32_e32 v62, v62                                 // 0000000068C8: 7E7C0B3E
	v_cvt_f32_i32_e32 v63, v63                                 // 0000000068CC: 7E7E0B3F
	v_mul_f32_dpp v60, v24, v60 row_newbcast:0 row_mask:0xf bank_mask:0xf// 0000000068D0: 0A7878FA FF015018
	v_mul_f32_dpp v61, v24, v61 row_newbcast:1 row_mask:0xf bank_mask:0xf// 0000000068D8: 0A7A7AFA FF015118
	v_mul_f32_dpp v62, v24, v62 row_newbcast:2 row_mask:0xf bank_mask:0xf// 0000000068E0: 0A7C7CFA FF015218
	v_mul_f32_dpp v63, v24, v63 row_newbcast:3 row_mask:0xf bank_mask:0xf// 0000000068E8: 0A7E7EFA FF015318
	v_cvt_f32_i32_e32 v64, v64                                 // 0000000068F0: 7E800B40
	v_cvt_f32_i32_e32 v65, v65                                 // 0000000068F4: 7E820B41
	v_cvt_f32_i32_e32 v66, v66                                 // 0000000068F8: 7E840B42
	v_cvt_f32_i32_e32 v67, v67                                 // 0000000068FC: 7E860B43
	v_mul_f32_dpp v64, v24, v64 row_newbcast:0 row_mask:0xf bank_mask:0xf// 000000006900: 0A8080FA FF015018
	v_mul_f32_dpp v65, v24, v65 row_newbcast:1 row_mask:0xf bank_mask:0xf// 000000006908: 0A8282FA FF015118
	v_mul_f32_dpp v66, v24, v66 row_newbcast:2 row_mask:0xf bank_mask:0xf// 000000006910: 0A8484FA FF015218
	v_mul_f32_dpp v67, v24, v67 row_newbcast:3 row_mask:0xf bank_mask:0xf// 000000006918: 0A8686FA FF015318
	v_cvt_f32_i32_e32 v68, v68                                 // 000000006920: 7E880B44
	v_cvt_f32_i32_e32 v69, v69                                 // 000000006924: 7E8A0B45
	v_cvt_f32_i32_e32 v70, v70                                 // 000000006928: 7E8C0B46
	v_cvt_f32_i32_e32 v71, v71                                 // 00000000692C: 7E8E0B47
	v_mul_f32_dpp v68, v24, v68 row_newbcast:0 row_mask:0xf bank_mask:0xf// 000000006930: 0A8888FA FF015018
	v_mul_f32_dpp v69, v24, v69 row_newbcast:1 row_mask:0xf bank_mask:0xf// 000000006938: 0A8A8AFA FF015118
	v_mul_f32_dpp v70, v24, v70 row_newbcast:2 row_mask:0xf bank_mask:0xf// 000000006940: 0A8C8CFA FF015218
	v_mul_f32_dpp v71, v24, v71 row_newbcast:3 row_mask:0xf bank_mask:0xf// 000000006948: 0A8E8EFA FF015318
	v_cvt_f32_i32_e32 v72, v72                                 // 000000006950: 7E900B48
	v_cvt_f32_i32_e32 v73, v73                                 // 000000006954: 7E920B49
	v_cvt_f32_i32_e32 v74, v74                                 // 000000006958: 7E940B4A
	v_cvt_f32_i32_e32 v75, v75                                 // 00000000695C: 7E960B4B
	v_mul_f32_dpp v72, v24, v72 row_newbcast:4 row_mask:0xf bank_mask:0xf// 000000006960: 0A9090FA FF015418
	v_mul_f32_dpp v73, v24, v73 row_newbcast:5 row_mask:0xf bank_mask:0xf// 000000006968: 0A9292FA FF015518
	v_mul_f32_dpp v74, v24, v74 row_newbcast:6 row_mask:0xf bank_mask:0xf// 000000006970: 0A9494FA FF015618
	v_mul_f32_dpp v75, v24, v75 row_newbcast:7 row_mask:0xf bank_mask:0xf// 000000006978: 0A9696FA FF015718
	v_cvt_f32_i32_e32 v76, v76                                 // 000000006980: 7E980B4C
	v_cvt_f32_i32_e32 v77, v77                                 // 000000006984: 7E9A0B4D
	v_cvt_f32_i32_e32 v78, v78                                 // 000000006988: 7E9C0B4E
	v_cvt_f32_i32_e32 v79, v79                                 // 00000000698C: 7E9E0B4F
	v_mul_f32_dpp v76, v24, v76 row_newbcast:4 row_mask:0xf bank_mask:0xf// 000000006990: 0A9898FA FF015418
	v_mul_f32_dpp v77, v24, v77 row_newbcast:5 row_mask:0xf bank_mask:0xf// 000000006998: 0A9A9AFA FF015518
	v_mul_f32_dpp v78, v24, v78 row_newbcast:6 row_mask:0xf bank_mask:0xf// 0000000069A0: 0A9C9CFA FF015618
	v_mul_f32_dpp v79, v24, v79 row_newbcast:7 row_mask:0xf bank_mask:0xf// 0000000069A8: 0A9E9EFA FF015718
	v_cvt_f32_i32_e32 v80, v80                                 // 0000000069B0: 7EA00B50
	v_cvt_f32_i32_e32 v81, v81                                 // 0000000069B4: 7EA20B51
	v_cvt_f32_i32_e32 v82, v82                                 // 0000000069B8: 7EA40B52
	v_cvt_f32_i32_e32 v83, v83                                 // 0000000069BC: 7EA60B53
	v_mul_f32_dpp v80, v24, v80 row_newbcast:4 row_mask:0xf bank_mask:0xf// 0000000069C0: 0AA0A0FA FF015418
	v_mul_f32_dpp v81, v24, v81 row_newbcast:5 row_mask:0xf bank_mask:0xf// 0000000069C8: 0AA2A2FA FF015518
	v_mul_f32_dpp v82, v24, v82 row_newbcast:6 row_mask:0xf bank_mask:0xf// 0000000069D0: 0AA4A4FA FF015618
	v_mul_f32_dpp v83, v24, v83 row_newbcast:7 row_mask:0xf bank_mask:0xf// 0000000069D8: 0AA6A6FA FF015718
	v_cvt_f32_i32_e32 v84, v84                                 // 0000000069E0: 7EA80B54
	v_cvt_f32_i32_e32 v85, v85                                 // 0000000069E4: 7EAA0B55
	v_cvt_f32_i32_e32 v86, v86                                 // 0000000069E8: 7EAC0B56
	v_cvt_f32_i32_e32 v87, v87                                 // 0000000069EC: 7EAE0B57
	v_mul_f32_dpp v84, v24, v84 row_newbcast:4 row_mask:0xf bank_mask:0xf// 0000000069F0: 0AA8A8FA FF015418
	v_mul_f32_dpp v85, v24, v85 row_newbcast:5 row_mask:0xf bank_mask:0xf// 0000000069F8: 0AAAAAFA FF015518
	v_mul_f32_dpp v86, v24, v86 row_newbcast:6 row_mask:0xf bank_mask:0xf// 000000006A00: 0AACACFA FF015618
	v_mul_f32_dpp v87, v24, v87 row_newbcast:7 row_mask:0xf bank_mask:0xf// 000000006A08: 0AAEAEFA FF015718
	v_cvt_f32_i32_e32 v88, v88                                 // 000000006A10: 7EB00B58
	v_cvt_f32_i32_e32 v89, v89                                 // 000000006A14: 7EB20B59
	v_cvt_f32_i32_e32 v90, v90                                 // 000000006A18: 7EB40B5A
	v_cvt_f32_i32_e32 v91, v91                                 // 000000006A1C: 7EB60B5B
	v_mul_f32_dpp v88, v26, v88 row_newbcast:0 row_mask:0xf bank_mask:0xf// 000000006A20: 0AB0B0FA FF01501A
	v_mul_f32_dpp v89, v26, v89 row_newbcast:1 row_mask:0xf bank_mask:0xf// 000000006A28: 0AB2B2FA FF01511A
	v_mul_f32_dpp v90, v26, v90 row_newbcast:2 row_mask:0xf bank_mask:0xf// 000000006A30: 0AB4B4FA FF01521A
	v_mul_f32_dpp v91, v26, v91 row_newbcast:3 row_mask:0xf bank_mask:0xf// 000000006A38: 0AB6B6FA FF01531A
	v_cvt_f32_i32_e32 v92, v92                                 // 000000006A40: 7EB80B5C
	v_cvt_f32_i32_e32 v93, v93                                 // 000000006A44: 7EBA0B5D
	v_cvt_f32_i32_e32 v94, v94                                 // 000000006A48: 7EBC0B5E
	v_cvt_f32_i32_e32 v95, v95                                 // 000000006A4C: 7EBE0B5F
	v_mul_f32_dpp v92, v26, v92 row_newbcast:0 row_mask:0xf bank_mask:0xf// 000000006A50: 0AB8B8FA FF01501A
	v_mul_f32_dpp v93, v26, v93 row_newbcast:1 row_mask:0xf bank_mask:0xf// 000000006A58: 0ABABAFA FF01511A
	v_mul_f32_dpp v94, v26, v94 row_newbcast:2 row_mask:0xf bank_mask:0xf// 000000006A60: 0ABCBCFA FF01521A
	v_mul_f32_dpp v95, v26, v95 row_newbcast:3 row_mask:0xf bank_mask:0xf// 000000006A68: 0ABEBEFA FF01531A
	v_cvt_f32_i32_e32 v96, v96                                 // 000000006A70: 7EC00B60
	v_cvt_f32_i32_e32 v97, v97                                 // 000000006A74: 7EC20B61
	v_cvt_f32_i32_e32 v98, v98                                 // 000000006A78: 7EC40B62
	v_cvt_f32_i32_e32 v99, v99                                 // 000000006A7C: 7EC60B63
	v_mul_f32_dpp v96, v26, v96 row_newbcast:0 row_mask:0xf bank_mask:0xf// 000000006A80: 0AC0C0FA FF01501A
	v_mul_f32_dpp v97, v26, v97 row_newbcast:1 row_mask:0xf bank_mask:0xf// 000000006A88: 0AC2C2FA FF01511A
	v_mul_f32_dpp v98, v26, v98 row_newbcast:2 row_mask:0xf bank_mask:0xf// 000000006A90: 0AC4C4FA FF01521A
	v_mul_f32_dpp v99, v26, v99 row_newbcast:3 row_mask:0xf bank_mask:0xf// 000000006A98: 0AC6C6FA FF01531A
	v_cvt_f32_i32_e32 v100, v100                               // 000000006AA0: 7EC80B64
	v_cvt_f32_i32_e32 v101, v101                               // 000000006AA4: 7ECA0B65
	v_cvt_f32_i32_e32 v102, v102                               // 000000006AA8: 7ECC0B66
	v_cvt_f32_i32_e32 v103, v103                               // 000000006AAC: 7ECE0B67
	v_mul_f32_dpp v100, v26, v100 row_newbcast:0 row_mask:0xf bank_mask:0xf// 000000006AB0: 0AC8C8FA FF01501A
	v_mul_f32_dpp v101, v26, v101 row_newbcast:1 row_mask:0xf bank_mask:0xf// 000000006AB8: 0ACACAFA FF01511A
	v_mul_f32_dpp v102, v26, v102 row_newbcast:2 row_mask:0xf bank_mask:0xf// 000000006AC0: 0ACCCCFA FF01521A
	v_mul_f32_dpp v103, v26, v103 row_newbcast:3 row_mask:0xf bank_mask:0xf// 000000006AC8: 0ACECEFA FF01531A
	v_cvt_f32_i32_e32 v104, v104                               // 000000006AD0: 7ED00B68
	v_cvt_f32_i32_e32 v105, v105                               // 000000006AD4: 7ED20B69
	v_cvt_f32_i32_e32 v106, v106                               // 000000006AD8: 7ED40B6A
	v_cvt_f32_i32_e32 v107, v107                               // 000000006ADC: 7ED60B6B
	v_mul_f32_dpp v104, v26, v104 row_newbcast:4 row_mask:0xf bank_mask:0xf// 000000006AE0: 0AD0D0FA FF01541A
	v_mul_f32_dpp v105, v26, v105 row_newbcast:5 row_mask:0xf bank_mask:0xf// 000000006AE8: 0AD2D2FA FF01551A
	v_mul_f32_dpp v106, v26, v106 row_newbcast:6 row_mask:0xf bank_mask:0xf// 000000006AF0: 0AD4D4FA FF01561A
	v_mul_f32_dpp v107, v26, v107 row_newbcast:7 row_mask:0xf bank_mask:0xf// 000000006AF8: 0AD6D6FA FF01571A
	v_cvt_f32_i32_e32 v108, v108                               // 000000006B00: 7ED80B6C
	v_cvt_f32_i32_e32 v109, v109                               // 000000006B04: 7EDA0B6D
	v_cvt_f32_i32_e32 v110, v110                               // 000000006B08: 7EDC0B6E
	v_cvt_f32_i32_e32 v111, v111                               // 000000006B0C: 7EDE0B6F
	v_mul_f32_dpp v108, v26, v108 row_newbcast:4 row_mask:0xf bank_mask:0xf// 000000006B10: 0AD8D8FA FF01541A
	v_mul_f32_dpp v109, v26, v109 row_newbcast:5 row_mask:0xf bank_mask:0xf// 000000006B18: 0ADADAFA FF01551A
	v_mul_f32_dpp v110, v26, v110 row_newbcast:6 row_mask:0xf bank_mask:0xf// 000000006B20: 0ADCDCFA FF01561A
	v_mul_f32_dpp v111, v26, v111 row_newbcast:7 row_mask:0xf bank_mask:0xf// 000000006B28: 0ADEDEFA FF01571A
	v_cvt_f32_i32_e32 v112, v112                               // 000000006B30: 7EE00B70
	v_cvt_f32_i32_e32 v113, v113                               // 000000006B34: 7EE20B71
	v_cvt_f32_i32_e32 v114, v114                               // 000000006B38: 7EE40B72
	v_cvt_f32_i32_e32 v115, v115                               // 000000006B3C: 7EE60B73
	v_mul_f32_dpp v112, v26, v112 row_newbcast:4 row_mask:0xf bank_mask:0xf// 000000006B40: 0AE0E0FA FF01541A
	v_mul_f32_dpp v113, v26, v113 row_newbcast:5 row_mask:0xf bank_mask:0xf// 000000006B48: 0AE2E2FA FF01551A
	v_mul_f32_dpp v114, v26, v114 row_newbcast:6 row_mask:0xf bank_mask:0xf// 000000006B50: 0AE4E4FA FF01561A
	v_mul_f32_dpp v115, v26, v115 row_newbcast:7 row_mask:0xf bank_mask:0xf// 000000006B58: 0AE6E6FA FF01571A
	v_cvt_f32_i32_e32 v116, v116                               // 000000006B60: 7EE80B74
	v_cvt_f32_i32_e32 v117, v117                               // 000000006B64: 7EEA0B75
	v_cvt_f32_i32_e32 v118, v118                               // 000000006B68: 7EEC0B76
	v_cvt_f32_i32_e32 v119, v119                               // 000000006B6C: 7EEE0B77
	v_mul_f32_dpp v116, v26, v116 row_newbcast:4 row_mask:0xf bank_mask:0xf// 000000006B70: 0AE8E8FA FF01541A
	v_mul_f32_dpp v117, v26, v117 row_newbcast:5 row_mask:0xf bank_mask:0xf// 000000006B78: 0AEAEAFA FF01551A
	v_mul_f32_dpp v118, v26, v118 row_newbcast:6 row_mask:0xf bank_mask:0xf// 000000006B80: 0AECECFA FF01561A
	v_mul_f32_dpp v119, v26, v119 row_newbcast:7 row_mask:0xf bank_mask:0xf// 000000006B88: 0AEEEEFA FF01571A
	v_mov_b32_e32 v4, v32                                      // 000000006B90: 7E080320
	v_mov_b32_e32 v5, v4                                       // 000000006B94: 7E0A0304
	v_pk_mul_f32 v[56:57], v[4:5], v[56:57]                    // 000000006B98: D3B14038 18027104
	v_pk_mul_f32 v[88:89], v[4:5], v[88:89]                    // 000000006BA0: D3B14058 1802B104
	v_pk_mul_f32 v[58:59], v[4:5], v[58:59]                    // 000000006BA8: D3B1403A 18027504
	v_pk_mul_f32 v[90:91], v[4:5], v[90:91]                    // 000000006BB0: D3B1405A 1802B504
	v_pk_mul_f32 v[72:73], v[4:5], v[72:73]                    // 000000006BB8: D3B14048 18029104
	v_pk_mul_f32 v[104:105], v[4:5], v[104:105]                // 000000006BC0: D3B14068 1802D104
	v_pk_mul_f32 v[74:75], v[4:5], v[74:75]                    // 000000006BC8: D3B1404A 18029504
	v_pk_mul_f32 v[106:107], v[4:5], v[106:107]                // 000000006BD0: D3B1406A 1802D504
	v_mov_b32_e32 v4, v33                                      // 000000006BD8: 7E080321
	v_mov_b32_e32 v5, v4                                       // 000000006BDC: 7E0A0304
	v_pk_mul_f32 v[60:61], v[4:5], v[60:61]                    // 000000006BE0: D3B1403C 18027904
	v_pk_mul_f32 v[92:93], v[4:5], v[92:93]                    // 000000006BE8: D3B1405C 1802B904
	v_pk_mul_f32 v[62:63], v[4:5], v[62:63]                    // 000000006BF0: D3B1403E 18027D04
	v_pk_mul_f32 v[94:95], v[4:5], v[94:95]                    // 000000006BF8: D3B1405E 1802BD04
	v_pk_mul_f32 v[76:77], v[4:5], v[76:77]                    // 000000006C00: D3B1404C 18029904
	v_pk_mul_f32 v[108:109], v[4:5], v[108:109]                // 000000006C08: D3B1406C 1802D904
	v_pk_mul_f32 v[78:79], v[4:5], v[78:79]                    // 000000006C10: D3B1404E 18029D04
	v_pk_mul_f32 v[110:111], v[4:5], v[110:111]                // 000000006C18: D3B1406E 1802DD04
	v_mov_b32_e32 v4, v34                                      // 000000006C20: 7E080322
	v_mov_b32_e32 v5, v4                                       // 000000006C24: 7E0A0304
	v_pk_mul_f32 v[64:65], v[4:5], v[64:65]                    // 000000006C28: D3B14040 18028104
	v_pk_mul_f32 v[96:97], v[4:5], v[96:97]                    // 000000006C30: D3B14060 1802C104
	v_pk_mul_f32 v[66:67], v[4:5], v[66:67]                    // 000000006C38: D3B14042 18028504
	v_pk_mul_f32 v[98:99], v[4:5], v[98:99]                    // 000000006C40: D3B14062 1802C504
	v_pk_mul_f32 v[80:81], v[4:5], v[80:81]                    // 000000006C48: D3B14050 1802A104
	v_pk_mul_f32 v[112:113], v[4:5], v[112:113]                // 000000006C50: D3B14070 1802E104
	v_pk_mul_f32 v[82:83], v[4:5], v[82:83]                    // 000000006C58: D3B14052 1802A504
	v_pk_mul_f32 v[114:115], v[4:5], v[114:115]                // 000000006C60: D3B14072 1802E504
	v_mov_b32_e32 v4, v35                                      // 000000006C68: 7E080323
	v_mov_b32_e32 v5, v4                                       // 000000006C6C: 7E0A0304
	v_pk_mul_f32 v[68:69], v[4:5], v[68:69]                    // 000000006C70: D3B14044 18028904
	v_pk_mul_f32 v[100:101], v[4:5], v[100:101]                // 000000006C78: D3B14064 1802C904
	v_pk_mul_f32 v[70:71], v[4:5], v[70:71]                    // 000000006C80: D3B14046 18028D04
	v_pk_mul_f32 v[102:103], v[4:5], v[102:103]                // 000000006C88: D3B14066 1802CD04
	v_pk_mul_f32 v[84:85], v[4:5], v[84:85]                    // 000000006C90: D3B14054 1802A904
	v_pk_mul_f32 v[116:117], v[4:5], v[116:117]                // 000000006C98: D3B14074 1802E904
	v_pk_mul_f32 v[86:87], v[4:5], v[86:87]                    // 000000006CA0: D3B14056 1802AD04
	v_pk_mul_f32 v[118:119], v[4:5], v[118:119]                // 000000006CA8: D3B14076 1802ED04
	s_cmp_eq_u32 s88, 0                                        // 000000006CB0: BF068058
	s_cbranch_scc0 label_1572                                  // 000000006CB4: BF8404C1
	s_cmp_eq_u32 s89, 0                                        // 000000006CB8: BF068059
	s_cbranch_scc1 label_11F8                                  // 000000006CBC: BF850145
	v_mov_b32_e32 v8, v1                                       // 000000006CC0: 7E100301
	v_mov_b32_e32 v9, v1                                       // 000000006CC4: 7E120301
	s_mov_b32 s60, s6                                          // 000000006CC8: BEBC0006
	s_mov_b32 s61, s6                                          // 000000006CCC: BEBD0006
	v_pk_mul_f32 v[4:5], v[56:57], v[56:57]                    // 000000006CD0: D3B14004 18027138
	v_pk_mul_f32 v[6:7], v[58:59], v[58:59]                    // 000000006CD8: D3B14006 1802753A
	v_pk_fma_f32 v[4:5], v[4:5], s[78:79], v[8:9]              // 000000006CE0: D3B04004 1C209D04
	v_pk_fma_f32 v[6:7], v[6:7], s[78:79], v[8:9]              // 000000006CE8: D3B04006 1C209D06
	v_pk_mul_f32 v[4:5], v[4:5], v[56:57]                      // 000000006CF0: D3B14004 18027104
	v_pk_mul_f32 v[6:7], v[6:7], v[58:59]                      // 000000006CF8: D3B14006 18027506
	v_pk_mul_f32 v[4:5], v[4:5], s[60:61]                      // 000000006D00: D3B14004 18007904
	v_pk_mul_f32 v[6:7], v[6:7], s[60:61]                      // 000000006D08: D3B14006 18007906
	v_exp_f32_e32 v4, v4                                       // 000000006D10: 7E084104
	v_exp_f32_e32 v5, v5                                       // 000000006D14: 7E0A4105
	v_exp_f32_e32 v6, v6                                       // 000000006D18: 7E0C4106
	v_exp_f32_e32 v7, v7                                       // 000000006D1C: 7E0E4107
	v_add_f32_e64 v4, v4, 1.0                                  // 000000006D20: D1010004 0001E504
	v_add_f32_e64 v5, v5, 1.0                                  // 000000006D28: D1010005 0001E505
	v_add_f32_e64 v6, v6, 1.0                                  // 000000006D30: D1010006 0001E506
	v_add_f32_e64 v7, v7, 1.0                                  // 000000006D38: D1010007 0001E507
	v_rcp_f32_e32 v4, v4                                       // 000000006D40: 7E084504
	v_rcp_f32_e32 v5, v5                                       // 000000006D44: 7E0A4505
	v_rcp_f32_e32 v6, v6                                       // 000000006D48: 7E0C4506
	v_rcp_f32_e32 v7, v7                                       // 000000006D4C: 7E0E4507
	v_mul_f32_e32 v56, v56, v4                                 // 000000006D50: 0A700938
	v_mul_f32_e32 v57, v57, v5                                 // 000000006D54: 0A720B39
	v_mul_f32_e32 v58, v58, v6                                 // 000000006D58: 0A740D3A
	v_mul_f32_e32 v59, v59, v7                                 // 000000006D5C: 0A760F3B
	v_mul_f32_e32 v56, v56, v88                                // 000000006D60: 0A70B138
	v_mul_f32_e32 v57, v57, v89                                // 000000006D64: 0A72B339
	v_mul_f32_e32 v58, v58, v90                                // 000000006D68: 0A74B53A
	v_mul_f32_e32 v59, v59, v91                                // 000000006D6C: 0A76B73B
	v_pk_mul_f32 v[4:5], v[60:61], v[60:61]                    // 000000006D70: D3B14004 1802793C
	v_pk_mul_f32 v[6:7], v[62:63], v[62:63]                    // 000000006D78: D3B14006 18027D3E
	v_pk_fma_f32 v[4:5], v[4:5], s[78:79], v[8:9]              // 000000006D80: D3B04004 1C209D04
	v_pk_fma_f32 v[6:7], v[6:7], s[78:79], v[8:9]              // 000000006D88: D3B04006 1C209D06
	v_pk_mul_f32 v[4:5], v[4:5], v[60:61]                      // 000000006D90: D3B14004 18027904
	v_pk_mul_f32 v[6:7], v[6:7], v[62:63]                      // 000000006D98: D3B14006 18027D06
	v_pk_mul_f32 v[4:5], v[4:5], s[60:61]                      // 000000006DA0: D3B14004 18007904
	v_pk_mul_f32 v[6:7], v[6:7], s[60:61]                      // 000000006DA8: D3B14006 18007906
	v_exp_f32_e32 v4, v4                                       // 000000006DB0: 7E084104
	v_exp_f32_e32 v5, v5                                       // 000000006DB4: 7E0A4105
	v_exp_f32_e32 v6, v6                                       // 000000006DB8: 7E0C4106
	v_exp_f32_e32 v7, v7                                       // 000000006DBC: 7E0E4107
	v_add_f32_e64 v4, v4, 1.0                                  // 000000006DC0: D1010004 0001E504
	v_add_f32_e64 v5, v5, 1.0                                  // 000000006DC8: D1010005 0001E505
	v_add_f32_e64 v6, v6, 1.0                                  // 000000006DD0: D1010006 0001E506
	v_add_f32_e64 v7, v7, 1.0                                  // 000000006DD8: D1010007 0001E507
	v_rcp_f32_e32 v4, v4                                       // 000000006DE0: 7E084504
	v_rcp_f32_e32 v5, v5                                       // 000000006DE4: 7E0A4505
	v_rcp_f32_e32 v6, v6                                       // 000000006DE8: 7E0C4506
	v_rcp_f32_e32 v7, v7                                       // 000000006DEC: 7E0E4507
	v_mul_f32_e32 v60, v60, v4                                 // 000000006DF0: 0A78093C
	v_mul_f32_e32 v61, v61, v5                                 // 000000006DF4: 0A7A0B3D
	v_mul_f32_e32 v62, v62, v6                                 // 000000006DF8: 0A7C0D3E
	v_mul_f32_e32 v63, v63, v7                                 // 000000006DFC: 0A7E0F3F
	v_mul_f32_e32 v60, v60, v92                                // 000000006E00: 0A78B93C
	v_mul_f32_e32 v61, v61, v93                                // 000000006E04: 0A7ABB3D
	v_mul_f32_e32 v62, v62, v94                                // 000000006E08: 0A7CBD3E
	v_mul_f32_e32 v63, v63, v95                                // 000000006E0C: 0A7EBF3F
	v_pk_mul_f32 v[4:5], v[64:65], v[64:65]                    // 000000006E10: D3B14004 18028140
	v_pk_mul_f32 v[6:7], v[66:67], v[66:67]                    // 000000006E18: D3B14006 18028542
	v_pk_fma_f32 v[4:5], v[4:5], s[78:79], v[8:9]              // 000000006E20: D3B04004 1C209D04
	v_pk_fma_f32 v[6:7], v[6:7], s[78:79], v[8:9]              // 000000006E28: D3B04006 1C209D06
	v_pk_mul_f32 v[4:5], v[4:5], v[64:65]                      // 000000006E30: D3B14004 18028104
	v_pk_mul_f32 v[6:7], v[6:7], v[66:67]                      // 000000006E38: D3B14006 18028506
	v_pk_mul_f32 v[4:5], v[4:5], s[60:61]                      // 000000006E40: D3B14004 18007904
	v_pk_mul_f32 v[6:7], v[6:7], s[60:61]                      // 000000006E48: D3B14006 18007906
	v_exp_f32_e32 v4, v4                                       // 000000006E50: 7E084104
	v_exp_f32_e32 v5, v5                                       // 000000006E54: 7E0A4105
	v_exp_f32_e32 v6, v6                                       // 000000006E58: 7E0C4106
	v_exp_f32_e32 v7, v7                                       // 000000006E5C: 7E0E4107
	v_add_f32_e64 v4, v4, 1.0                                  // 000000006E60: D1010004 0001E504
	v_add_f32_e64 v5, v5, 1.0                                  // 000000006E68: D1010005 0001E505
	v_add_f32_e64 v6, v6, 1.0                                  // 000000006E70: D1010006 0001E506
	v_add_f32_e64 v7, v7, 1.0                                  // 000000006E78: D1010007 0001E507
	v_rcp_f32_e32 v4, v4                                       // 000000006E80: 7E084504
	v_rcp_f32_e32 v5, v5                                       // 000000006E84: 7E0A4505
	v_rcp_f32_e32 v6, v6                                       // 000000006E88: 7E0C4506
	v_rcp_f32_e32 v7, v7                                       // 000000006E8C: 7E0E4507
	v_mul_f32_e32 v64, v64, v4                                 // 000000006E90: 0A800940
	v_mul_f32_e32 v65, v65, v5                                 // 000000006E94: 0A820B41
	v_mul_f32_e32 v66, v66, v6                                 // 000000006E98: 0A840D42
	v_mul_f32_e32 v67, v67, v7                                 // 000000006E9C: 0A860F43
	v_mul_f32_e32 v64, v64, v96                                // 000000006EA0: 0A80C140
	v_mul_f32_e32 v65, v65, v97                                // 000000006EA4: 0A82C341
	v_mul_f32_e32 v66, v66, v98                                // 000000006EA8: 0A84C542
	v_mul_f32_e32 v67, v67, v99                                // 000000006EAC: 0A86C743
	v_pk_mul_f32 v[4:5], v[68:69], v[68:69]                    // 000000006EB0: D3B14004 18028944
	v_pk_mul_f32 v[6:7], v[70:71], v[70:71]                    // 000000006EB8: D3B14006 18028D46
	v_pk_fma_f32 v[4:5], v[4:5], s[78:79], v[8:9]              // 000000006EC0: D3B04004 1C209D04
	v_pk_fma_f32 v[6:7], v[6:7], s[78:79], v[8:9]              // 000000006EC8: D3B04006 1C209D06
	v_pk_mul_f32 v[4:5], v[4:5], v[68:69]                      // 000000006ED0: D3B14004 18028904
	v_pk_mul_f32 v[6:7], v[6:7], v[70:71]                      // 000000006ED8: D3B14006 18028D06
	v_pk_mul_f32 v[4:5], v[4:5], s[60:61]                      // 000000006EE0: D3B14004 18007904
	v_pk_mul_f32 v[6:7], v[6:7], s[60:61]                      // 000000006EE8: D3B14006 18007906
	v_exp_f32_e32 v4, v4                                       // 000000006EF0: 7E084104
	v_exp_f32_e32 v5, v5                                       // 000000006EF4: 7E0A4105
	v_exp_f32_e32 v6, v6                                       // 000000006EF8: 7E0C4106
	v_exp_f32_e32 v7, v7                                       // 000000006EFC: 7E0E4107
	v_add_f32_e64 v4, v4, 1.0                                  // 000000006F00: D1010004 0001E504
	v_add_f32_e64 v5, v5, 1.0                                  // 000000006F08: D1010005 0001E505
	v_add_f32_e64 v6, v6, 1.0                                  // 000000006F10: D1010006 0001E506
	v_add_f32_e64 v7, v7, 1.0                                  // 000000006F18: D1010007 0001E507
	v_rcp_f32_e32 v4, v4                                       // 000000006F20: 7E084504
	v_rcp_f32_e32 v5, v5                                       // 000000006F24: 7E0A4505
	v_rcp_f32_e32 v6, v6                                       // 000000006F28: 7E0C4506
	v_rcp_f32_e32 v7, v7                                       // 000000006F2C: 7E0E4507
	v_mul_f32_e32 v68, v68, v4                                 // 000000006F30: 0A880944
	v_mul_f32_e32 v69, v69, v5                                 // 000000006F34: 0A8A0B45
	v_mul_f32_e32 v70, v70, v6                                 // 000000006F38: 0A8C0D46
	v_mul_f32_e32 v71, v71, v7                                 // 000000006F3C: 0A8E0F47
	v_mul_f32_e32 v68, v68, v100                               // 000000006F40: 0A88C944
	v_mul_f32_e32 v69, v69, v101                               // 000000006F44: 0A8ACB45
	v_mul_f32_e32 v70, v70, v102                               // 000000006F48: 0A8CCD46
	v_mul_f32_e32 v71, v71, v103                               // 000000006F4C: 0A8ECF47
	v_pk_mul_f32 v[4:5], v[72:73], v[72:73]                    // 000000006F50: D3B14004 18029148
	v_pk_mul_f32 v[6:7], v[74:75], v[74:75]                    // 000000006F58: D3B14006 1802954A
	v_pk_fma_f32 v[4:5], v[4:5], s[78:79], v[8:9]              // 000000006F60: D3B04004 1C209D04
	v_pk_fma_f32 v[6:7], v[6:7], s[78:79], v[8:9]              // 000000006F68: D3B04006 1C209D06
	v_pk_mul_f32 v[4:5], v[4:5], v[72:73]                      // 000000006F70: D3B14004 18029104
	v_pk_mul_f32 v[6:7], v[6:7], v[74:75]                      // 000000006F78: D3B14006 18029506
	v_pk_mul_f32 v[4:5], v[4:5], s[60:61]                      // 000000006F80: D3B14004 18007904
	v_pk_mul_f32 v[6:7], v[6:7], s[60:61]                      // 000000006F88: D3B14006 18007906
	v_exp_f32_e32 v4, v4                                       // 000000006F90: 7E084104
	v_exp_f32_e32 v5, v5                                       // 000000006F94: 7E0A4105
	v_exp_f32_e32 v6, v6                                       // 000000006F98: 7E0C4106
	v_exp_f32_e32 v7, v7                                       // 000000006F9C: 7E0E4107
	v_add_f32_e64 v4, v4, 1.0                                  // 000000006FA0: D1010004 0001E504
	v_add_f32_e64 v5, v5, 1.0                                  // 000000006FA8: D1010005 0001E505
	v_add_f32_e64 v6, v6, 1.0                                  // 000000006FB0: D1010006 0001E506
	v_add_f32_e64 v7, v7, 1.0                                  // 000000006FB8: D1010007 0001E507
	v_rcp_f32_e32 v4, v4                                       // 000000006FC0: 7E084504
	v_rcp_f32_e32 v5, v5                                       // 000000006FC4: 7E0A4505
	v_rcp_f32_e32 v6, v6                                       // 000000006FC8: 7E0C4506
	v_rcp_f32_e32 v7, v7                                       // 000000006FCC: 7E0E4507
	v_mul_f32_e32 v72, v72, v4                                 // 000000006FD0: 0A900948
	v_mul_f32_e32 v73, v73, v5                                 // 000000006FD4: 0A920B49
	v_mul_f32_e32 v74, v74, v6                                 // 000000006FD8: 0A940D4A
	v_mul_f32_e32 v75, v75, v7                                 // 000000006FDC: 0A960F4B
	v_mul_f32_e32 v72, v72, v104                               // 000000006FE0: 0A90D148
	v_mul_f32_e32 v73, v73, v105                               // 000000006FE4: 0A92D349
	v_mul_f32_e32 v74, v74, v106                               // 000000006FE8: 0A94D54A
	v_mul_f32_e32 v75, v75, v107                               // 000000006FEC: 0A96D74B
	v_pk_mul_f32 v[4:5], v[76:77], v[76:77]                    // 000000006FF0: D3B14004 1802994C
	v_pk_mul_f32 v[6:7], v[78:79], v[78:79]                    // 000000006FF8: D3B14006 18029D4E
	v_pk_fma_f32 v[4:5], v[4:5], s[78:79], v[8:9]              // 000000007000: D3B04004 1C209D04
	v_pk_fma_f32 v[6:7], v[6:7], s[78:79], v[8:9]              // 000000007008: D3B04006 1C209D06
	v_pk_mul_f32 v[4:5], v[4:5], v[76:77]                      // 000000007010: D3B14004 18029904
	v_pk_mul_f32 v[6:7], v[6:7], v[78:79]                      // 000000007018: D3B14006 18029D06
	v_pk_mul_f32 v[4:5], v[4:5], s[60:61]                      // 000000007020: D3B14004 18007904
	v_pk_mul_f32 v[6:7], v[6:7], s[60:61]                      // 000000007028: D3B14006 18007906
	v_exp_f32_e32 v4, v4                                       // 000000007030: 7E084104
	v_exp_f32_e32 v5, v5                                       // 000000007034: 7E0A4105
	v_exp_f32_e32 v6, v6                                       // 000000007038: 7E0C4106
	v_exp_f32_e32 v7, v7                                       // 00000000703C: 7E0E4107
	v_add_f32_e64 v4, v4, 1.0                                  // 000000007040: D1010004 0001E504
	v_add_f32_e64 v5, v5, 1.0                                  // 000000007048: D1010005 0001E505
	v_add_f32_e64 v6, v6, 1.0                                  // 000000007050: D1010006 0001E506
	v_add_f32_e64 v7, v7, 1.0                                  // 000000007058: D1010007 0001E507
	v_rcp_f32_e32 v4, v4                                       // 000000007060: 7E084504
	v_rcp_f32_e32 v5, v5                                       // 000000007064: 7E0A4505
	v_rcp_f32_e32 v6, v6                                       // 000000007068: 7E0C4506
	v_rcp_f32_e32 v7, v7                                       // 00000000706C: 7E0E4507
	v_mul_f32_e32 v76, v76, v4                                 // 000000007070: 0A98094C
	v_mul_f32_e32 v77, v77, v5                                 // 000000007074: 0A9A0B4D
	v_mul_f32_e32 v78, v78, v6                                 // 000000007078: 0A9C0D4E
	v_mul_f32_e32 v79, v79, v7                                 // 00000000707C: 0A9E0F4F
	v_mul_f32_e32 v76, v76, v108                               // 000000007080: 0A98D94C
	v_mul_f32_e32 v77, v77, v109                               // 000000007084: 0A9ADB4D
	v_mul_f32_e32 v78, v78, v110                               // 000000007088: 0A9CDD4E
	v_mul_f32_e32 v79, v79, v111                               // 00000000708C: 0A9EDF4F
	v_pk_mul_f32 v[4:5], v[80:81], v[80:81]                    // 000000007090: D3B14004 1802A150
	v_pk_mul_f32 v[6:7], v[82:83], v[82:83]                    // 000000007098: D3B14006 1802A552
	v_pk_fma_f32 v[4:5], v[4:5], s[78:79], v[8:9]              // 0000000070A0: D3B04004 1C209D04
	v_pk_fma_f32 v[6:7], v[6:7], s[78:79], v[8:9]              // 0000000070A8: D3B04006 1C209D06
	v_pk_mul_f32 v[4:5], v[4:5], v[80:81]                      // 0000000070B0: D3B14004 1802A104
	v_pk_mul_f32 v[6:7], v[6:7], v[82:83]                      // 0000000070B8: D3B14006 1802A506
	v_pk_mul_f32 v[4:5], v[4:5], s[60:61]                      // 0000000070C0: D3B14004 18007904
	v_pk_mul_f32 v[6:7], v[6:7], s[60:61]                      // 0000000070C8: D3B14006 18007906
	v_exp_f32_e32 v4, v4                                       // 0000000070D0: 7E084104
	v_exp_f32_e32 v5, v5                                       // 0000000070D4: 7E0A4105
	v_exp_f32_e32 v6, v6                                       // 0000000070D8: 7E0C4106
	v_exp_f32_e32 v7, v7                                       // 0000000070DC: 7E0E4107
	v_add_f32_e64 v4, v4, 1.0                                  // 0000000070E0: D1010004 0001E504
	v_add_f32_e64 v5, v5, 1.0                                  // 0000000070E8: D1010005 0001E505
	v_add_f32_e64 v6, v6, 1.0                                  // 0000000070F0: D1010006 0001E506
	v_add_f32_e64 v7, v7, 1.0                                  // 0000000070F8: D1010007 0001E507
	v_rcp_f32_e32 v4, v4                                       // 000000007100: 7E084504
	v_rcp_f32_e32 v5, v5                                       // 000000007104: 7E0A4505
	v_rcp_f32_e32 v6, v6                                       // 000000007108: 7E0C4506
	v_rcp_f32_e32 v7, v7                                       // 00000000710C: 7E0E4507
	v_mul_f32_e32 v80, v80, v4                                 // 000000007110: 0AA00950
	v_mul_f32_e32 v81, v81, v5                                 // 000000007114: 0AA20B51
	v_mul_f32_e32 v82, v82, v6                                 // 000000007118: 0AA40D52
	v_mul_f32_e32 v83, v83, v7                                 // 00000000711C: 0AA60F53
	v_mul_f32_e32 v80, v80, v112                               // 000000007120: 0AA0E150
	v_mul_f32_e32 v81, v81, v113                               // 000000007124: 0AA2E351
	v_mul_f32_e32 v82, v82, v114                               // 000000007128: 0AA4E552
	v_mul_f32_e32 v83, v83, v115                               // 00000000712C: 0AA6E753
	v_pk_mul_f32 v[4:5], v[84:85], v[84:85]                    // 000000007130: D3B14004 1802A954
	v_pk_mul_f32 v[6:7], v[86:87], v[86:87]                    // 000000007138: D3B14006 1802AD56
	v_pk_fma_f32 v[4:5], v[4:5], s[78:79], v[8:9]              // 000000007140: D3B04004 1C209D04
	v_pk_fma_f32 v[6:7], v[6:7], s[78:79], v[8:9]              // 000000007148: D3B04006 1C209D06
	v_pk_mul_f32 v[4:5], v[4:5], v[84:85]                      // 000000007150: D3B14004 1802A904
	v_pk_mul_f32 v[6:7], v[6:7], v[86:87]                      // 000000007158: D3B14006 1802AD06
	v_pk_mul_f32 v[4:5], v[4:5], s[60:61]                      // 000000007160: D3B14004 18007904
	v_pk_mul_f32 v[6:7], v[6:7], s[60:61]                      // 000000007168: D3B14006 18007906
	v_exp_f32_e32 v4, v4                                       // 000000007170: 7E084104
	v_exp_f32_e32 v5, v5                                       // 000000007174: 7E0A4105
	v_exp_f32_e32 v6, v6                                       // 000000007178: 7E0C4106
	v_exp_f32_e32 v7, v7                                       // 00000000717C: 7E0E4107
	v_add_f32_e64 v4, v4, 1.0                                  // 000000007180: D1010004 0001E504
	v_add_f32_e64 v5, v5, 1.0                                  // 000000007188: D1010005 0001E505
	v_add_f32_e64 v6, v6, 1.0                                  // 000000007190: D1010006 0001E506
	v_add_f32_e64 v7, v7, 1.0                                  // 000000007198: D1010007 0001E507
	v_rcp_f32_e32 v4, v4                                       // 0000000071A0: 7E084504
	v_rcp_f32_e32 v5, v5                                       // 0000000071A4: 7E0A4505
	v_rcp_f32_e32 v6, v6                                       // 0000000071A8: 7E0C4506
	v_rcp_f32_e32 v7, v7                                       // 0000000071AC: 7E0E4507
	v_mul_f32_e32 v84, v84, v4                                 // 0000000071B0: 0AA80954
	v_mul_f32_e32 v85, v85, v5                                 // 0000000071B4: 0AAA0B55
	v_mul_f32_e32 v86, v86, v6                                 // 0000000071B8: 0AAC0D56
	v_mul_f32_e32 v87, v87, v7                                 // 0000000071BC: 0AAE0F57
	v_mul_f32_e32 v84, v84, v116                               // 0000000071C0: 0AA8E954
	v_mul_f32_e32 v85, v85, v117                               // 0000000071C4: 0AAAEB55
	v_mul_f32_e32 v86, v86, v118                               // 0000000071C8: 0AACED56
	v_mul_f32_e32 v87, v87, v119                               // 0000000071CC: 0AAEEF57
	s_branch label_12F8                                        // 0000000071D0: BF820100

00000000000071d4 <label_11F8>:
	v_mul_f32_e64 v4, -v56, s6                                 // 0000000071D4: D1050004 20000D38
	v_mul_f32_e64 v5, -v57, s6                                 // 0000000071DC: D1050005 20000D39
	v_mul_f32_e64 v6, -v58, s6                                 // 0000000071E4: D1050006 20000D3A
	v_mul_f32_e64 v7, -v59, s6                                 // 0000000071EC: D1050007 20000D3B
	v_exp_f32_e32 v4, v4                                       // 0000000071F4: 7E084104
	v_exp_f32_e32 v5, v5                                       // 0000000071F8: 7E0A4105
	v_exp_f32_e32 v6, v6                                       // 0000000071FC: 7E0C4106
	v_exp_f32_e32 v7, v7                                       // 000000007200: 7E0E4107
	v_add_f32_e64 v4, v4, 1.0                                  // 000000007204: D1010004 0001E504
	v_add_f32_e64 v5, v5, 1.0                                  // 00000000720C: D1010005 0001E505
	v_add_f32_e64 v6, v6, 1.0                                  // 000000007214: D1010006 0001E506
	v_add_f32_e64 v7, v7, 1.0                                  // 00000000721C: D1010007 0001E507
	v_rcp_f32_e32 v4, v4                                       // 000000007224: 7E084504
	v_rcp_f32_e32 v5, v5                                       // 000000007228: 7E0A4505
	v_rcp_f32_e32 v6, v6                                       // 00000000722C: 7E0C4506
	v_rcp_f32_e32 v7, v7                                       // 000000007230: 7E0E4507
	v_mul_f32_e32 v56, v56, v4                                 // 000000007234: 0A700938
	v_mul_f32_e32 v57, v57, v5                                 // 000000007238: 0A720B39
	v_mul_f32_e32 v58, v58, v6                                 // 00000000723C: 0A740D3A
	v_mul_f32_e32 v59, v59, v7                                 // 000000007240: 0A760F3B
	v_mul_f32_e32 v56, v56, v88                                // 000000007244: 0A70B138
	v_mul_f32_e32 v57, v57, v89                                // 000000007248: 0A72B339
	v_mul_f32_e32 v58, v58, v90                                // 00000000724C: 0A74B53A
	v_mul_f32_e32 v59, v59, v91                                // 000000007250: 0A76B73B
	v_mul_f32_e64 v4, -v60, s6                                 // 000000007254: D1050004 20000D3C
	v_mul_f32_e64 v5, -v61, s6                                 // 00000000725C: D1050005 20000D3D
	v_mul_f32_e64 v6, -v62, s6                                 // 000000007264: D1050006 20000D3E
	v_mul_f32_e64 v7, -v63, s6                                 // 00000000726C: D1050007 20000D3F
	v_exp_f32_e32 v4, v4                                       // 000000007274: 7E084104
	v_exp_f32_e32 v5, v5                                       // 000000007278: 7E0A4105
	v_exp_f32_e32 v6, v6                                       // 00000000727C: 7E0C4106
	v_exp_f32_e32 v7, v7                                       // 000000007280: 7E0E4107
	v_add_f32_e64 v4, v4, 1.0                                  // 000000007284: D1010004 0001E504
	v_add_f32_e64 v5, v5, 1.0                                  // 00000000728C: D1010005 0001E505
	v_add_f32_e64 v6, v6, 1.0                                  // 000000007294: D1010006 0001E506
	v_add_f32_e64 v7, v7, 1.0                                  // 00000000729C: D1010007 0001E507
	v_rcp_f32_e32 v4, v4                                       // 0000000072A4: 7E084504
	v_rcp_f32_e32 v5, v5                                       // 0000000072A8: 7E0A4505
	v_rcp_f32_e32 v6, v6                                       // 0000000072AC: 7E0C4506
	v_rcp_f32_e32 v7, v7                                       // 0000000072B0: 7E0E4507
	v_mul_f32_e32 v60, v60, v4                                 // 0000000072B4: 0A78093C
	v_mul_f32_e32 v61, v61, v5                                 // 0000000072B8: 0A7A0B3D
	v_mul_f32_e32 v62, v62, v6                                 // 0000000072BC: 0A7C0D3E
	v_mul_f32_e32 v63, v63, v7                                 // 0000000072C0: 0A7E0F3F
	v_mul_f32_e32 v60, v60, v92                                // 0000000072C4: 0A78B93C
	v_mul_f32_e32 v61, v61, v93                                // 0000000072C8: 0A7ABB3D
	v_mul_f32_e32 v62, v62, v94                                // 0000000072CC: 0A7CBD3E
	v_mul_f32_e32 v63, v63, v95                                // 0000000072D0: 0A7EBF3F
	v_mul_f32_e64 v4, -v64, s6                                 // 0000000072D4: D1050004 20000D40
	v_mul_f32_e64 v5, -v65, s6                                 // 0000000072DC: D1050005 20000D41
	v_mul_f32_e64 v6, -v66, s6                                 // 0000000072E4: D1050006 20000D42
	v_mul_f32_e64 v7, -v67, s6                                 // 0000000072EC: D1050007 20000D43
	v_exp_f32_e32 v4, v4                                       // 0000000072F4: 7E084104
	v_exp_f32_e32 v5, v5                                       // 0000000072F8: 7E0A4105
	v_exp_f32_e32 v6, v6                                       // 0000000072FC: 7E0C4106
	v_exp_f32_e32 v7, v7                                       // 000000007300: 7E0E4107
	v_add_f32_e64 v4, v4, 1.0                                  // 000000007304: D1010004 0001E504
	v_add_f32_e64 v5, v5, 1.0                                  // 00000000730C: D1010005 0001E505
	v_add_f32_e64 v6, v6, 1.0                                  // 000000007314: D1010006 0001E506
	v_add_f32_e64 v7, v7, 1.0                                  // 00000000731C: D1010007 0001E507
	v_rcp_f32_e32 v4, v4                                       // 000000007324: 7E084504
	v_rcp_f32_e32 v5, v5                                       // 000000007328: 7E0A4505
	v_rcp_f32_e32 v6, v6                                       // 00000000732C: 7E0C4506
	v_rcp_f32_e32 v7, v7                                       // 000000007330: 7E0E4507
	v_mul_f32_e32 v64, v64, v4                                 // 000000007334: 0A800940
	v_mul_f32_e32 v65, v65, v5                                 // 000000007338: 0A820B41
	v_mul_f32_e32 v66, v66, v6                                 // 00000000733C: 0A840D42
	v_mul_f32_e32 v67, v67, v7                                 // 000000007340: 0A860F43
	v_mul_f32_e32 v64, v64, v96                                // 000000007344: 0A80C140
	v_mul_f32_e32 v65, v65, v97                                // 000000007348: 0A82C341
	v_mul_f32_e32 v66, v66, v98                                // 00000000734C: 0A84C542
	v_mul_f32_e32 v67, v67, v99                                // 000000007350: 0A86C743
	v_mul_f32_e64 v4, -v68, s6                                 // 000000007354: D1050004 20000D44
	v_mul_f32_e64 v5, -v69, s6                                 // 00000000735C: D1050005 20000D45
	v_mul_f32_e64 v6, -v70, s6                                 // 000000007364: D1050006 20000D46
	v_mul_f32_e64 v7, -v71, s6                                 // 00000000736C: D1050007 20000D47
	v_exp_f32_e32 v4, v4                                       // 000000007374: 7E084104
	v_exp_f32_e32 v5, v5                                       // 000000007378: 7E0A4105
	v_exp_f32_e32 v6, v6                                       // 00000000737C: 7E0C4106
	v_exp_f32_e32 v7, v7                                       // 000000007380: 7E0E4107
	v_add_f32_e64 v4, v4, 1.0                                  // 000000007384: D1010004 0001E504
	v_add_f32_e64 v5, v5, 1.0                                  // 00000000738C: D1010005 0001E505
	v_add_f32_e64 v6, v6, 1.0                                  // 000000007394: D1010006 0001E506
	v_add_f32_e64 v7, v7, 1.0                                  // 00000000739C: D1010007 0001E507
	v_rcp_f32_e32 v4, v4                                       // 0000000073A4: 7E084504
	v_rcp_f32_e32 v5, v5                                       // 0000000073A8: 7E0A4505
	v_rcp_f32_e32 v6, v6                                       // 0000000073AC: 7E0C4506
	v_rcp_f32_e32 v7, v7                                       // 0000000073B0: 7E0E4507
	v_mul_f32_e32 v68, v68, v4                                 // 0000000073B4: 0A880944
	v_mul_f32_e32 v69, v69, v5                                 // 0000000073B8: 0A8A0B45
	v_mul_f32_e32 v70, v70, v6                                 // 0000000073BC: 0A8C0D46
	v_mul_f32_e32 v71, v71, v7                                 // 0000000073C0: 0A8E0F47
	v_mul_f32_e32 v68, v68, v100                               // 0000000073C4: 0A88C944
	v_mul_f32_e32 v69, v69, v101                               // 0000000073C8: 0A8ACB45
	v_mul_f32_e32 v70, v70, v102                               // 0000000073CC: 0A8CCD46
	v_mul_f32_e32 v71, v71, v103                               // 0000000073D0: 0A8ECF47
	v_mul_f32_e64 v4, -v72, s6                                 // 0000000073D4: D1050004 20000D48
	v_mul_f32_e64 v5, -v73, s6                                 // 0000000073DC: D1050005 20000D49
	v_mul_f32_e64 v6, -v74, s6                                 // 0000000073E4: D1050006 20000D4A
	v_mul_f32_e64 v7, -v75, s6                                 // 0000000073EC: D1050007 20000D4B
	v_exp_f32_e32 v4, v4                                       // 0000000073F4: 7E084104
	v_exp_f32_e32 v5, v5                                       // 0000000073F8: 7E0A4105
	v_exp_f32_e32 v6, v6                                       // 0000000073FC: 7E0C4106
	v_exp_f32_e32 v7, v7                                       // 000000007400: 7E0E4107
	v_add_f32_e64 v4, v4, 1.0                                  // 000000007404: D1010004 0001E504
	v_add_f32_e64 v5, v5, 1.0                                  // 00000000740C: D1010005 0001E505
	v_add_f32_e64 v6, v6, 1.0                                  // 000000007414: D1010006 0001E506
	v_add_f32_e64 v7, v7, 1.0                                  // 00000000741C: D1010007 0001E507
	v_rcp_f32_e32 v4, v4                                       // 000000007424: 7E084504
	v_rcp_f32_e32 v5, v5                                       // 000000007428: 7E0A4505
	v_rcp_f32_e32 v6, v6                                       // 00000000742C: 7E0C4506
	v_rcp_f32_e32 v7, v7                                       // 000000007430: 7E0E4507
	v_mul_f32_e32 v72, v72, v4                                 // 000000007434: 0A900948
	v_mul_f32_e32 v73, v73, v5                                 // 000000007438: 0A920B49
	v_mul_f32_e32 v74, v74, v6                                 // 00000000743C: 0A940D4A
	v_mul_f32_e32 v75, v75, v7                                 // 000000007440: 0A960F4B
	v_mul_f32_e32 v72, v72, v104                               // 000000007444: 0A90D148
	v_mul_f32_e32 v73, v73, v105                               // 000000007448: 0A92D349
	v_mul_f32_e32 v74, v74, v106                               // 00000000744C: 0A94D54A
	v_mul_f32_e32 v75, v75, v107                               // 000000007450: 0A96D74B
	v_mul_f32_e64 v4, -v76, s6                                 // 000000007454: D1050004 20000D4C
	v_mul_f32_e64 v5, -v77, s6                                 // 00000000745C: D1050005 20000D4D
	v_mul_f32_e64 v6, -v78, s6                                 // 000000007464: D1050006 20000D4E
	v_mul_f32_e64 v7, -v79, s6                                 // 00000000746C: D1050007 20000D4F
	v_exp_f32_e32 v4, v4                                       // 000000007474: 7E084104
	v_exp_f32_e32 v5, v5                                       // 000000007478: 7E0A4105
	v_exp_f32_e32 v6, v6                                       // 00000000747C: 7E0C4106
	v_exp_f32_e32 v7, v7                                       // 000000007480: 7E0E4107
	v_add_f32_e64 v4, v4, 1.0                                  // 000000007484: D1010004 0001E504
	v_add_f32_e64 v5, v5, 1.0                                  // 00000000748C: D1010005 0001E505
	v_add_f32_e64 v6, v6, 1.0                                  // 000000007494: D1010006 0001E506
	v_add_f32_e64 v7, v7, 1.0                                  // 00000000749C: D1010007 0001E507
	v_rcp_f32_e32 v4, v4                                       // 0000000074A4: 7E084504
	v_rcp_f32_e32 v5, v5                                       // 0000000074A8: 7E0A4505
	v_rcp_f32_e32 v6, v6                                       // 0000000074AC: 7E0C4506
	v_rcp_f32_e32 v7, v7                                       // 0000000074B0: 7E0E4507
	v_mul_f32_e32 v76, v76, v4                                 // 0000000074B4: 0A98094C
	v_mul_f32_e32 v77, v77, v5                                 // 0000000074B8: 0A9A0B4D
	v_mul_f32_e32 v78, v78, v6                                 // 0000000074BC: 0A9C0D4E
	v_mul_f32_e32 v79, v79, v7                                 // 0000000074C0: 0A9E0F4F
	v_mul_f32_e32 v76, v76, v108                               // 0000000074C4: 0A98D94C
	v_mul_f32_e32 v77, v77, v109                               // 0000000074C8: 0A9ADB4D
	v_mul_f32_e32 v78, v78, v110                               // 0000000074CC: 0A9CDD4E
	v_mul_f32_e32 v79, v79, v111                               // 0000000074D0: 0A9EDF4F
	v_mul_f32_e64 v4, -v80, s6                                 // 0000000074D4: D1050004 20000D50
	v_mul_f32_e64 v5, -v81, s6                                 // 0000000074DC: D1050005 20000D51
	v_mul_f32_e64 v6, -v82, s6                                 // 0000000074E4: D1050006 20000D52
	v_mul_f32_e64 v7, -v83, s6                                 // 0000000074EC: D1050007 20000D53
	v_exp_f32_e32 v4, v4                                       // 0000000074F4: 7E084104
	v_exp_f32_e32 v5, v5                                       // 0000000074F8: 7E0A4105
	v_exp_f32_e32 v6, v6                                       // 0000000074FC: 7E0C4106
	v_exp_f32_e32 v7, v7                                       // 000000007500: 7E0E4107
	v_add_f32_e64 v4, v4, 1.0                                  // 000000007504: D1010004 0001E504
	v_add_f32_e64 v5, v5, 1.0                                  // 00000000750C: D1010005 0001E505
	v_add_f32_e64 v6, v6, 1.0                                  // 000000007514: D1010006 0001E506
	v_add_f32_e64 v7, v7, 1.0                                  // 00000000751C: D1010007 0001E507
	v_rcp_f32_e32 v4, v4                                       // 000000007524: 7E084504
	v_rcp_f32_e32 v5, v5                                       // 000000007528: 7E0A4505
	v_rcp_f32_e32 v6, v6                                       // 00000000752C: 7E0C4506
	v_rcp_f32_e32 v7, v7                                       // 000000007530: 7E0E4507
	v_mul_f32_e32 v80, v80, v4                                 // 000000007534: 0AA00950
	v_mul_f32_e32 v81, v81, v5                                 // 000000007538: 0AA20B51
	v_mul_f32_e32 v82, v82, v6                                 // 00000000753C: 0AA40D52
	v_mul_f32_e32 v83, v83, v7                                 // 000000007540: 0AA60F53
	v_mul_f32_e32 v80, v80, v112                               // 000000007544: 0AA0E150
	v_mul_f32_e32 v81, v81, v113                               // 000000007548: 0AA2E351
	v_mul_f32_e32 v82, v82, v114                               // 00000000754C: 0AA4E552
	v_mul_f32_e32 v83, v83, v115                               // 000000007550: 0AA6E753
	v_mul_f32_e64 v4, -v84, s6                                 // 000000007554: D1050004 20000D54
	v_mul_f32_e64 v5, -v85, s6                                 // 00000000755C: D1050005 20000D55
	v_mul_f32_e64 v6, -v86, s6                                 // 000000007564: D1050006 20000D56
	v_mul_f32_e64 v7, -v87, s6                                 // 00000000756C: D1050007 20000D57
	v_exp_f32_e32 v4, v4                                       // 000000007574: 7E084104
	v_exp_f32_e32 v5, v5                                       // 000000007578: 7E0A4105
	v_exp_f32_e32 v6, v6                                       // 00000000757C: 7E0C4106
	v_exp_f32_e32 v7, v7                                       // 000000007580: 7E0E4107
	v_add_f32_e64 v4, v4, 1.0                                  // 000000007584: D1010004 0001E504
	v_add_f32_e64 v5, v5, 1.0                                  // 00000000758C: D1010005 0001E505
	v_add_f32_e64 v6, v6, 1.0                                  // 000000007594: D1010006 0001E506
	v_add_f32_e64 v7, v7, 1.0                                  // 00000000759C: D1010007 0001E507
	v_rcp_f32_e32 v4, v4                                       // 0000000075A4: 7E084504
	v_rcp_f32_e32 v5, v5                                       // 0000000075A8: 7E0A4505
	v_rcp_f32_e32 v6, v6                                       // 0000000075AC: 7E0C4506
	v_rcp_f32_e32 v7, v7                                       // 0000000075B0: 7E0E4507
	v_mul_f32_e32 v84, v84, v4                                 // 0000000075B4: 0AA80954
	v_mul_f32_e32 v85, v85, v5                                 // 0000000075B8: 0AAA0B55
	v_mul_f32_e32 v86, v86, v6                                 // 0000000075BC: 0AAC0D56
	v_mul_f32_e32 v87, v87, v7                                 // 0000000075C0: 0AAE0F57
	v_mul_f32_e32 v84, v84, v116                               // 0000000075C4: 0AA8E954
	v_mul_f32_e32 v85, v85, v117                               // 0000000075C8: 0AAAEB55
	v_mul_f32_e32 v86, v86, v118                               // 0000000075CC: 0AACED56
	v_mul_f32_e32 v87, v87, v119                               // 0000000075D0: 0AAEEF57

00000000000075d4 <label_12F8>:
	v_cmp_u_f32_e64 s[46:47], v56, v56                         // 0000000075D4: D048002E 00027138
	v_add3_u32 v16, v56, v19, 1                                // 0000000075DC: D1FF0010 02062738
	v_cndmask_b32_e64 v4, v16, v18, s[46:47]                   // 0000000075E4: D1000004 00BA2510
	v_cmp_u_f32_e64 s[46:47], v57, v57                         // 0000000075EC: D048002E 00027339
	v_add3_u32 v16, v57, v19, 1                                // 0000000075F4: D1FF0010 02062739
	v_cndmask_b32_e64 v5, v16, v18, s[46:47]                   // 0000000075FC: D1000005 00BA2510
	v_perm_b32 v56, v5, v4, s52                                // 000000007604: D1ED0038 00D20905
	v_cmp_u_f32_e64 s[46:47], v58, v58                         // 00000000760C: D048002E 0002753A
	v_add3_u32 v16, v58, v19, 1                                // 000000007614: D1FF0010 0206273A
	v_cndmask_b32_e64 v4, v16, v18, s[46:47]                   // 00000000761C: D1000004 00BA2510
	v_cmp_u_f32_e64 s[46:47], v59, v59                         // 000000007624: D048002E 0002773B
	v_add3_u32 v16, v59, v19, 1                                // 00000000762C: D1FF0010 0206273B
	v_cndmask_b32_e64 v5, v16, v18, s[46:47]                   // 000000007634: D1000005 00BA2510
	v_perm_b32 v57, v5, v4, s52                                // 00000000763C: D1ED0039 00D20905
	v_cmp_u_f32_e64 s[46:47], v60, v60                         // 000000007644: D048002E 0002793C
	v_add3_u32 v16, v60, v19, 1                                // 00000000764C: D1FF0010 0206273C
	v_cndmask_b32_e64 v4, v16, v18, s[46:47]                   // 000000007654: D1000004 00BA2510
	v_cmp_u_f32_e64 s[46:47], v61, v61                         // 00000000765C: D048002E 00027B3D
	v_add3_u32 v16, v61, v19, 1                                // 000000007664: D1FF0010 0206273D
	v_cndmask_b32_e64 v5, v16, v18, s[46:47]                   // 00000000766C: D1000005 00BA2510
	v_perm_b32 v58, v5, v4, s52                                // 000000007674: D1ED003A 00D20905
	v_cmp_u_f32_e64 s[46:47], v62, v62                         // 00000000767C: D048002E 00027D3E
	v_add3_u32 v16, v62, v19, 1                                // 000000007684: D1FF0010 0206273E
	v_cndmask_b32_e64 v4, v16, v18, s[46:47]                   // 00000000768C: D1000004 00BA2510
	v_cmp_u_f32_e64 s[46:47], v63, v63                         // 000000007694: D048002E 00027F3F
	v_add3_u32 v16, v63, v19, 1                                // 00000000769C: D1FF0010 0206273F
	v_cndmask_b32_e64 v5, v16, v18, s[46:47]                   // 0000000076A4: D1000005 00BA2510
	v_perm_b32 v59, v5, v4, s52                                // 0000000076AC: D1ED003B 00D20905
	v_cmp_u_f32_e64 s[46:47], v64, v64                         // 0000000076B4: D048002E 00028140
	v_add3_u32 v16, v64, v19, 1                                // 0000000076BC: D1FF0010 02062740
	v_cndmask_b32_e64 v4, v16, v18, s[46:47]                   // 0000000076C4: D1000004 00BA2510
	v_cmp_u_f32_e64 s[46:47], v65, v65                         // 0000000076CC: D048002E 00028341
	v_add3_u32 v16, v65, v19, 1                                // 0000000076D4: D1FF0010 02062741
	v_cndmask_b32_e64 v5, v16, v18, s[46:47]                   // 0000000076DC: D1000005 00BA2510
	v_perm_b32 v60, v5, v4, s52                                // 0000000076E4: D1ED003C 00D20905
	v_cmp_u_f32_e64 s[46:47], v66, v66                         // 0000000076EC: D048002E 00028542
	v_add3_u32 v16, v66, v19, 1                                // 0000000076F4: D1FF0010 02062742
	v_cndmask_b32_e64 v4, v16, v18, s[46:47]                   // 0000000076FC: D1000004 00BA2510
	v_cmp_u_f32_e64 s[46:47], v67, v67                         // 000000007704: D048002E 00028743
	v_add3_u32 v16, v67, v19, 1                                // 00000000770C: D1FF0010 02062743
	v_cndmask_b32_e64 v5, v16, v18, s[46:47]                   // 000000007714: D1000005 00BA2510
	v_perm_b32 v61, v5, v4, s52                                // 00000000771C: D1ED003D 00D20905
	v_cmp_u_f32_e64 s[46:47], v68, v68                         // 000000007724: D048002E 00028944
	v_add3_u32 v16, v68, v19, 1                                // 00000000772C: D1FF0010 02062744
	v_cndmask_b32_e64 v4, v16, v18, s[46:47]                   // 000000007734: D1000004 00BA2510
	v_cmp_u_f32_e64 s[46:47], v69, v69                         // 00000000773C: D048002E 00028B45
	v_add3_u32 v16, v69, v19, 1                                // 000000007744: D1FF0010 02062745
	v_cndmask_b32_e64 v5, v16, v18, s[46:47]                   // 00000000774C: D1000005 00BA2510
	v_perm_b32 v62, v5, v4, s52                                // 000000007754: D1ED003E 00D20905
	v_cmp_u_f32_e64 s[46:47], v70, v70                         // 00000000775C: D048002E 00028D46
	v_add3_u32 v16, v70, v19, 1                                // 000000007764: D1FF0010 02062746
	v_cndmask_b32_e64 v4, v16, v18, s[46:47]                   // 00000000776C: D1000004 00BA2510
	v_cmp_u_f32_e64 s[46:47], v71, v71                         // 000000007774: D048002E 00028F47
	v_add3_u32 v16, v71, v19, 1                                // 00000000777C: D1FF0010 02062747
	v_cndmask_b32_e64 v5, v16, v18, s[46:47]                   // 000000007784: D1000005 00BA2510
	v_perm_b32 v63, v5, v4, s52                                // 00000000778C: D1ED003F 00D20905
	v_cmp_u_f32_e64 s[46:47], v72, v72                         // 000000007794: D048002E 00029148
	v_add3_u32 v16, v72, v19, 1                                // 00000000779C: D1FF0010 02062748
	v_cndmask_b32_e64 v4, v16, v18, s[46:47]                   // 0000000077A4: D1000004 00BA2510
	v_cmp_u_f32_e64 s[46:47], v73, v73                         // 0000000077AC: D048002E 00029349
	v_add3_u32 v16, v73, v19, 1                                // 0000000077B4: D1FF0010 02062749
	v_cndmask_b32_e64 v5, v16, v18, s[46:47]                   // 0000000077BC: D1000005 00BA2510
	v_perm_b32 v64, v5, v4, s52                                // 0000000077C4: D1ED0040 00D20905
	v_cmp_u_f32_e64 s[46:47], v74, v74                         // 0000000077CC: D048002E 0002954A
	v_add3_u32 v16, v74, v19, 1                                // 0000000077D4: D1FF0010 0206274A
	v_cndmask_b32_e64 v4, v16, v18, s[46:47]                   // 0000000077DC: D1000004 00BA2510
	v_cmp_u_f32_e64 s[46:47], v75, v75                         // 0000000077E4: D048002E 0002974B
	v_add3_u32 v16, v75, v19, 1                                // 0000000077EC: D1FF0010 0206274B
	v_cndmask_b32_e64 v5, v16, v18, s[46:47]                   // 0000000077F4: D1000005 00BA2510
	v_perm_b32 v65, v5, v4, s52                                // 0000000077FC: D1ED0041 00D20905
	v_cmp_u_f32_e64 s[46:47], v76, v76                         // 000000007804: D048002E 0002994C
	v_add3_u32 v16, v76, v19, 1                                // 00000000780C: D1FF0010 0206274C
	v_cndmask_b32_e64 v4, v16, v18, s[46:47]                   // 000000007814: D1000004 00BA2510
	v_cmp_u_f32_e64 s[46:47], v77, v77                         // 00000000781C: D048002E 00029B4D
	v_add3_u32 v16, v77, v19, 1                                // 000000007824: D1FF0010 0206274D
	v_cndmask_b32_e64 v5, v16, v18, s[46:47]                   // 00000000782C: D1000005 00BA2510
	v_perm_b32 v66, v5, v4, s52                                // 000000007834: D1ED0042 00D20905
	v_cmp_u_f32_e64 s[46:47], v78, v78                         // 00000000783C: D048002E 00029D4E
	v_add3_u32 v16, v78, v19, 1                                // 000000007844: D1FF0010 0206274E
	v_cndmask_b32_e64 v4, v16, v18, s[46:47]                   // 00000000784C: D1000004 00BA2510
	v_cmp_u_f32_e64 s[46:47], v79, v79                         // 000000007854: D048002E 00029F4F
	v_add3_u32 v16, v79, v19, 1                                // 00000000785C: D1FF0010 0206274F
	v_cndmask_b32_e64 v5, v16, v18, s[46:47]                   // 000000007864: D1000005 00BA2510
	v_perm_b32 v67, v5, v4, s52                                // 00000000786C: D1ED0043 00D20905
	v_cmp_u_f32_e64 s[46:47], v80, v80                         // 000000007874: D048002E 0002A150
	v_add3_u32 v16, v80, v19, 1                                // 00000000787C: D1FF0010 02062750
	v_cndmask_b32_e64 v4, v16, v18, s[46:47]                   // 000000007884: D1000004 00BA2510
	v_cmp_u_f32_e64 s[46:47], v81, v81                         // 00000000788C: D048002E 0002A351
	v_add3_u32 v16, v81, v19, 1                                // 000000007894: D1FF0010 02062751
	v_cndmask_b32_e64 v5, v16, v18, s[46:47]                   // 00000000789C: D1000005 00BA2510
	v_perm_b32 v68, v5, v4, s52                                // 0000000078A4: D1ED0044 00D20905
	v_cmp_u_f32_e64 s[46:47], v82, v82                         // 0000000078AC: D048002E 0002A552
	v_add3_u32 v16, v82, v19, 1                                // 0000000078B4: D1FF0010 02062752
	v_cndmask_b32_e64 v4, v16, v18, s[46:47]                   // 0000000078BC: D1000004 00BA2510
	v_cmp_u_f32_e64 s[46:47], v83, v83                         // 0000000078C4: D048002E 0002A753
	v_add3_u32 v16, v83, v19, 1                                // 0000000078CC: D1FF0010 02062753
	v_cndmask_b32_e64 v5, v16, v18, s[46:47]                   // 0000000078D4: D1000005 00BA2510
	v_perm_b32 v69, v5, v4, s52                                // 0000000078DC: D1ED0045 00D20905
	v_cmp_u_f32_e64 s[46:47], v84, v84                         // 0000000078E4: D048002E 0002A954
	v_add3_u32 v16, v84, v19, 1                                // 0000000078EC: D1FF0010 02062754
	v_cndmask_b32_e64 v4, v16, v18, s[46:47]                   // 0000000078F4: D1000004 00BA2510
	v_cmp_u_f32_e64 s[46:47], v85, v85                         // 0000000078FC: D048002E 0002AB55
	v_add3_u32 v16, v85, v19, 1                                // 000000007904: D1FF0010 02062755
	v_cndmask_b32_e64 v5, v16, v18, s[46:47]                   // 00000000790C: D1000005 00BA2510
	v_perm_b32 v70, v5, v4, s52                                // 000000007914: D1ED0046 00D20905
	v_cmp_u_f32_e64 s[46:47], v86, v86                         // 00000000791C: D048002E 0002AD56
	v_add3_u32 v16, v86, v19, 1                                // 000000007924: D1FF0010 02062756
	v_cndmask_b32_e64 v4, v16, v18, s[46:47]                   // 00000000792C: D1000004 00BA2510
	v_cmp_u_f32_e64 s[46:47], v87, v87                         // 000000007934: D048002E 0002AF57
	v_add3_u32 v16, v87, v19, 1                                // 00000000793C: D1FF0010 02062757
	v_cndmask_b32_e64 v5, v16, v18, s[46:47]                   // 000000007944: D1000005 00BA2510
	v_perm_b32 v71, v5, v4, s52                                // 00000000794C: D1ED0047 00D20905
	ds_write_b64 v20, v[56:57]                                 // 000000007954: D89A0000 00003814
	ds_write_b64 v20, v[58:59] offset:4352                     // 00000000795C: D89A1100 00003A14
	ds_write_b64 v20, v[60:61] offset:8704                     // 000000007964: D89A2200 00003C14
	ds_write_b64 v20, v[62:63] offset:13056                    // 00000000796C: D89A3300 00003E14
	ds_write_b64 v20, v[64:65] offset:2176                     // 000000007974: D89A0880 00004014
	ds_write_b64 v20, v[66:67] offset:6528                     // 00000000797C: D89A1980 00004214
	ds_write_b64 v20, v[68:69] offset:10880                    // 000000007984: D89A2A80 00004414
	ds_write_b64 v20, v[70:71] offset:15232                    // 00000000798C: D89A3B80 00004614
	v_lshrrev_b32_e32 v4, 5, v0                                // 000000007994: 20080085
	v_xor_b32_e32 v5, 1, v4                                    // 000000007998: 2A0A0881
	s_mul_i32 s60, s65, 2                                      // 00000000799C: 923C8241
	s_cmp_eq_u32 s88, 0                                        // 0000000079A0: BF068058
	s_cselect_b32 s61, 1, 4                                    // 0000000079A4: 853D8481
	s_mul_i32 s60, s61, s60                                    // 0000000079A8: 923C3C3D
	v_readlane_b32 s82, v3, 0                                  // 0000000079AC: D2890052 00010103
	s_lshr_b32 s61, s82, 24                                    // 0000000079B4: 8F3D9852
	s_and_b32 s82, s82, 0xffffff                               // 0000000079B8: 8652FF52 00FFFFFF
	s_mul_i32 s82, s82, s71                                    // 0000000079C0: 92524752
	s_mul_i32 s61, s60, s61                                    // 0000000079C4: 923D3D3C
	s_add_u32 s82, s82, s61                                    // 0000000079C8: 80523D52
	v_mul_lo_u32 v6, v5, s82                                   // 0000000079CC: D2850006 0000A505
	v_readlane_b32 s82, v3, 1                                  // 0000000079D4: D2890052 00010303
	s_lshr_b32 s61, s82, 24                                    // 0000000079DC: 8F3D9852
	s_and_b32 s82, s82, 0xffffff                               // 0000000079E0: 8652FF52 00FFFFFF
	s_mul_i32 s82, s82, s71                                    // 0000000079E8: 92524752
	s_mul_i32 s61, s60, s61                                    // 0000000079EC: 923D3D3C
	s_add_u32 s82, s82, s61                                    // 0000000079F0: 80523D52
	v_mul_lo_u32 v7, v4, s82                                   // 0000000079F4: D2850007 0000A504
	v_add_u32_e32 v44, v6, v7                                  // 0000000079FC: 68580F06
	v_readlane_b32 s82, v3, 2                                  // 000000007A00: D2890052 00010503
	s_lshr_b32 s61, s82, 24                                    // 000000007A08: 8F3D9852
	s_and_b32 s82, s82, 0xffffff                               // 000000007A0C: 8652FF52 00FFFFFF
	s_mul_i32 s82, s82, s71                                    // 000000007A14: 92524752
	s_mul_i32 s61, s60, s61                                    // 000000007A18: 923D3D3C
	s_add_u32 s82, s82, s61                                    // 000000007A1C: 80523D52
	v_mul_lo_u32 v6, v5, s82                                   // 000000007A20: D2850006 0000A505
	v_readlane_b32 s82, v3, 3                                  // 000000007A28: D2890052 00010703
	s_lshr_b32 s61, s82, 24                                    // 000000007A30: 8F3D9852
	s_and_b32 s82, s82, 0xffffff                               // 000000007A34: 8652FF52 00FFFFFF
	s_mul_i32 s82, s82, s71                                    // 000000007A3C: 92524752
	s_mul_i32 s61, s60, s61                                    // 000000007A40: 923D3D3C
	s_add_u32 s82, s82, s61                                    // 000000007A44: 80523D52
	v_mul_lo_u32 v7, v4, s82                                   // 000000007A48: D2850007 0000A504
	v_add_u32_e32 v45, v6, v7                                  // 000000007A50: 685A0F06
	v_readlane_b32 s82, v3, 4                                  // 000000007A54: D2890052 00010903
	s_lshr_b32 s61, s82, 24                                    // 000000007A5C: 8F3D9852
	s_and_b32 s82, s82, 0xffffff                               // 000000007A60: 8652FF52 00FFFFFF
	s_mul_i32 s82, s82, s71                                    // 000000007A68: 92524752
	s_mul_i32 s61, s60, s61                                    // 000000007A6C: 923D3D3C
	s_add_u32 s82, s82, s61                                    // 000000007A70: 80523D52
	v_mul_lo_u32 v6, v5, s82                                   // 000000007A74: D2850006 0000A505
	v_readlane_b32 s82, v3, 5                                  // 000000007A7C: D2890052 00010B03
	s_lshr_b32 s61, s82, 24                                    // 000000007A84: 8F3D9852
	s_and_b32 s82, s82, 0xffffff                               // 000000007A88: 8652FF52 00FFFFFF
	s_mul_i32 s82, s82, s71                                    // 000000007A90: 92524752
	s_mul_i32 s61, s60, s61                                    // 000000007A94: 923D3D3C
	s_add_u32 s82, s82, s61                                    // 000000007A98: 80523D52
	v_mul_lo_u32 v7, v4, s82                                   // 000000007A9C: D2850007 0000A504
	v_add_u32_e32 v46, v6, v7                                  // 000000007AA4: 685C0F06
	v_readlane_b32 s82, v3, 6                                  // 000000007AA8: D2890052 00010D03
	s_lshr_b32 s61, s82, 24                                    // 000000007AB0: 8F3D9852
	s_and_b32 s82, s82, 0xffffff                               // 000000007AB4: 8652FF52 00FFFFFF
	s_mul_i32 s82, s82, s71                                    // 000000007ABC: 92524752
	s_mul_i32 s61, s60, s61                                    // 000000007AC0: 923D3D3C
	s_add_u32 s82, s82, s61                                    // 000000007AC4: 80523D52
	v_mul_lo_u32 v6, v5, s82                                   // 000000007AC8: D2850006 0000A505
	v_readlane_b32 s82, v3, 7                                  // 000000007AD0: D2890052 00010F03
	s_lshr_b32 s61, s82, 24                                    // 000000007AD8: 8F3D9852
	s_and_b32 s82, s82, 0xffffff                               // 000000007ADC: 8652FF52 00FFFFFF
	s_mul_i32 s82, s82, s71                                    // 000000007AE4: 92524752
	s_mul_i32 s61, s60, s61                                    // 000000007AE8: 923D3D3C
	s_add_u32 s82, s82, s61                                    // 000000007AEC: 80523D52
	v_mul_lo_u32 v7, v4, s82                                   // 000000007AF0: D2850007 0000A504
	v_add_u32_e32 v47, v6, v7                                  // 000000007AF8: 685E0F06
	v_readlane_b32 s82, v3, 8                                  // 000000007AFC: D2890052 00011103
	s_lshr_b32 s61, s82, 24                                    // 000000007B04: 8F3D9852
	s_and_b32 s82, s82, 0xffffff                               // 000000007B08: 8652FF52 00FFFFFF
	s_mul_i32 s82, s82, s71                                    // 000000007B10: 92524752
	s_mul_i32 s61, s60, s61                                    // 000000007B14: 923D3D3C
	s_add_u32 s82, s82, s61                                    // 000000007B18: 80523D52
	v_mul_lo_u32 v6, v5, s82                                   // 000000007B1C: D2850006 0000A505
	v_readlane_b32 s82, v3, 9                                  // 000000007B24: D2890052 00011303
	s_lshr_b32 s61, s82, 24                                    // 000000007B2C: 8F3D9852
	s_and_b32 s82, s82, 0xffffff                               // 000000007B30: 8652FF52 00FFFFFF
	s_mul_i32 s82, s82, s71                                    // 000000007B38: 92524752
	s_mul_i32 s61, s60, s61                                    // 000000007B3C: 923D3D3C
	s_add_u32 s82, s82, s61                                    // 000000007B40: 80523D52
	v_mul_lo_u32 v7, v4, s82                                   // 000000007B44: D2850007 0000A504
	v_add_u32_e32 v48, v6, v7                                  // 000000007B4C: 68600F06
	v_readlane_b32 s82, v3, 10                                 // 000000007B50: D2890052 00011503
	s_lshr_b32 s61, s82, 24                                    // 000000007B58: 8F3D9852
	s_and_b32 s82, s82, 0xffffff                               // 000000007B5C: 8652FF52 00FFFFFF
	s_mul_i32 s82, s82, s71                                    // 000000007B64: 92524752
	s_mul_i32 s61, s60, s61                                    // 000000007B68: 923D3D3C
	s_add_u32 s82, s82, s61                                    // 000000007B6C: 80523D52
	v_mul_lo_u32 v6, v5, s82                                   // 000000007B70: D2850006 0000A505
	v_readlane_b32 s82, v3, 11                                 // 000000007B78: D2890052 00011703
	s_lshr_b32 s61, s82, 24                                    // 000000007B80: 8F3D9852
	s_and_b32 s82, s82, 0xffffff                               // 000000007B84: 8652FF52 00FFFFFF
	s_mul_i32 s82, s82, s71                                    // 000000007B8C: 92524752
	s_mul_i32 s61, s60, s61                                    // 000000007B90: 923D3D3C
	s_add_u32 s82, s82, s61                                    // 000000007B94: 80523D52
	v_mul_lo_u32 v7, v4, s82                                   // 000000007B98: D2850007 0000A504
	v_add_u32_e32 v49, v6, v7                                  // 000000007BA0: 68620F06
	v_readlane_b32 s82, v3, 12                                 // 000000007BA4: D2890052 00011903
	s_lshr_b32 s61, s82, 24                                    // 000000007BAC: 8F3D9852
	s_and_b32 s82, s82, 0xffffff                               // 000000007BB0: 8652FF52 00FFFFFF
	s_mul_i32 s82, s82, s71                                    // 000000007BB8: 92524752
	s_mul_i32 s61, s60, s61                                    // 000000007BBC: 923D3D3C
	s_add_u32 s82, s82, s61                                    // 000000007BC0: 80523D52
	v_mul_lo_u32 v6, v5, s82                                   // 000000007BC4: D2850006 0000A505
	v_readlane_b32 s82, v3, 13                                 // 000000007BCC: D2890052 00011B03
	s_lshr_b32 s61, s82, 24                                    // 000000007BD4: 8F3D9852
	s_and_b32 s82, s82, 0xffffff                               // 000000007BD8: 8652FF52 00FFFFFF
	s_mul_i32 s82, s82, s71                                    // 000000007BE0: 92524752
	s_mul_i32 s61, s60, s61                                    // 000000007BE4: 923D3D3C
	s_add_u32 s82, s82, s61                                    // 000000007BE8: 80523D52
	v_mul_lo_u32 v7, v4, s82                                   // 000000007BEC: D2850007 0000A504
	v_add_u32_e32 v50, v6, v7                                  // 000000007BF4: 68640F06
	v_readlane_b32 s82, v3, 14                                 // 000000007BF8: D2890052 00011D03
	s_lshr_b32 s61, s82, 24                                    // 000000007C00: 8F3D9852
	s_and_b32 s82, s82, 0xffffff                               // 000000007C04: 8652FF52 00FFFFFF
	s_mul_i32 s82, s82, s71                                    // 000000007C0C: 92524752
	s_mul_i32 s61, s60, s61                                    // 000000007C10: 923D3D3C
	s_add_u32 s82, s82, s61                                    // 000000007C14: 80523D52
	v_mul_lo_u32 v6, v5, s82                                   // 000000007C18: D2850006 0000A505
	v_readlane_b32 s82, v3, 15                                 // 000000007C20: D2890052 00011F03
	s_lshr_b32 s61, s82, 24                                    // 000000007C28: 8F3D9852
	s_and_b32 s82, s82, 0xffffff                               // 000000007C2C: 8652FF52 00FFFFFF
	s_mul_i32 s82, s82, s71                                    // 000000007C34: 92524752
	s_mul_i32 s61, s60, s61                                    // 000000007C38: 923D3D3C
	s_add_u32 s82, s82, s61                                    // 000000007C3C: 80523D52
	v_mul_lo_u32 v7, v4, s82                                   // 000000007C40: D2850007 0000A504
	v_add_u32_e32 v51, v6, v7                                  // 000000007C48: 68660F06
	v_and_b32_e32 v4, 31, v0                                   // 000000007C4C: 2608009F
	v_lshrrev_b32_e32 v4, 1, v4                                // 000000007C50: 20080881
	s_cmp_eq_u32 s88, 0                                        // 000000007C54: BF068058
	s_cselect_b32 s61, 2, 4                                    // 000000007C58: 853D8482
	v_mul_lo_u32 v4, v4, s61                                   // 000000007C5C: D2850004 00007B04
	v_and_b32_e64 v5, v0, 1                                    // 000000007C64: D1130005 00010300
	v_add_u32_e32 v4, v4, v5                                   // 000000007C6C: 68080B04
	v_lshlrev_b32_e32 v4, 2, v4                                // 000000007C70: 24080882
	v_add_u32_e32 v44, v44, v4                                 // 000000007C74: 6858092C
	v_add_u32_e32 v45, v45, v4                                 // 000000007C78: 685A092D
	v_add_u32_e32 v46, v46, v4                                 // 000000007C7C: 685C092E
	v_add_u32_e32 v47, v47, v4                                 // 000000007C80: 685E092F
	v_add_u32_e32 v48, v48, v4                                 // 000000007C84: 68600930
	v_add_u32_e32 v49, v49, v4                                 // 000000007C88: 68620931
	v_add_u32_e32 v50, v50, v4                                 // 000000007C8C: 68640932
	v_add_u32_e32 v51, v51, v4                                 // 000000007C90: 68660933
	s_waitcnt lgkmcnt(0)                                       // 000000007C94: BF8CC07F
	s_barrier                                                  // 000000007C98: BF8A0000
	ds_read_b32 v56, v21                                       // 000000007C9C: D86C0000 38000015
	ds_read_b32 v57, v21 offset:64                             // 000000007CA4: D86C0040 39000015
	ds_read_b32 v58, v21 offset:2176                           // 000000007CAC: D86C0880 3A000015
	ds_read_b32 v59, v21 offset:2240                           // 000000007CB4: D86C08C0 3B000015
	ds_read_b32 v60, v21 offset:4352                           // 000000007CBC: D86C1100 3C000015
	ds_read_b32 v61, v21 offset:4416                           // 000000007CC4: D86C1140 3D000015
	ds_read_b32 v62, v21 offset:6528                           // 000000007CCC: D86C1980 3E000015
	ds_read_b32 v63, v21 offset:6592                           // 000000007CD4: D86C19C0 3F000015
	ds_read_b32 v64, v21 offset:8704                           // 000000007CDC: D86C2200 40000015
	ds_read_b32 v65, v21 offset:8768                           // 000000007CE4: D86C2240 41000015
	ds_read_b32 v66, v21 offset:10880                          // 000000007CEC: D86C2A80 42000015
	ds_read_b32 v67, v21 offset:10944                          // 000000007CF4: D86C2AC0 43000015
	ds_read_b32 v68, v21 offset:13056                          // 000000007CFC: D86C3300 44000015
	ds_read_b32 v69, v21 offset:13120                          // 000000007D04: D86C3340 45000015
	ds_read_b32 v70, v21 offset:15232                          // 000000007D0C: D86C3B80 46000015
	ds_read_b32 v71, v21 offset:15296                          // 000000007D14: D86C3BC0 47000015
	s_waitcnt lgkmcnt(0)                                       // 000000007D1C: BF8CC07F
	s_mov_b32 s36, -1                                          // 000000007D20: BEA400C1
	s_mov_b32 s37, -1                                          // 000000007D24: BEA500C1
	v_mov_b32_e32 v7, 0                                        // 000000007D28: 7E0E0280
	s_or_b32 s9, s9, 0x40000                                   // 000000007D2C: 8709FF09 00040000
	s_mov_b64 exec, s[36:37]                                   // 000000007D34: BEFE0124
	v_mov_b32_e32 v6, v44                                      // 000000007D38: 7E0C032C
	s_mov_b64 s[60:61], 0                                      // 000000007D3C: BEBC0180
	v_readlane_b32 s82, v3, 0                                  // 000000007D40: D2890052 00010103
	s_and_b32 s82, s82, 0xffffff                               // 000000007D48: 8652FF52 00FFFFFF
	s_cmp_lt_u32 s82, s66                                      // 000000007D50: BF0A4252
	s_cselect_b32 s20, s36, s60                                // 000000007D54: 85143C24
	v_readlane_b32 s82, v3, 1                                  // 000000007D58: D2890052 00010303
	s_and_b32 s82, s82, 0xffffff                               // 000000007D60: 8652FF52 00FFFFFF
	s_cmp_lt_u32 s82, s66                                      // 000000007D68: BF0A4252
	s_cselect_b32 s21, s36, s60                                // 000000007D6C: 85153C24
	s_mov_b64 exec, s[20:21]                                   // 000000007D70: BEFE0114
	buffer_store_dword v56, v6, s[8:11], 0 offen               // 000000007D74: E0701000 80023806
	buffer_store_dword v58, v6, s[8:11], 0 offen offset:128    // 000000007D7C: E0701080 80023A06
	s_mov_b64 exec, s[36:37]                                   // 000000007D84: BEFE0124
	v_mov_b32_e32 v6, v45                                      // 000000007D88: 7E0C032D
	s_mov_b64 s[60:61], 0                                      // 000000007D8C: BEBC0180
	v_readlane_b32 s82, v3, 2                                  // 000000007D90: D2890052 00010503
	s_and_b32 s82, s82, 0xffffff                               // 000000007D98: 8652FF52 00FFFFFF
	s_cmp_lt_u32 s82, s66                                      // 000000007DA0: BF0A4252
	s_cselect_b32 s20, s36, s60                                // 000000007DA4: 85143C24
	v_readlane_b32 s82, v3, 3                                  // 000000007DA8: D2890052 00010703
	s_and_b32 s82, s82, 0xffffff                               // 000000007DB0: 8652FF52 00FFFFFF
	s_cmp_lt_u32 s82, s66                                      // 000000007DB8: BF0A4252
	s_cselect_b32 s21, s36, s60                                // 000000007DBC: 85153C24
	s_mov_b64 exec, s[20:21]                                   // 000000007DC0: BEFE0114
	buffer_store_dword v57, v6, s[8:11], 0 offen               // 000000007DC4: E0701000 80023906
	buffer_store_dword v59, v6, s[8:11], 0 offen offset:128    // 000000007DCC: E0701080 80023B06
	s_mov_b64 exec, s[36:37]                                   // 000000007DD4: BEFE0124
	v_mov_b32_e32 v6, v46                                      // 000000007DD8: 7E0C032E
	s_mov_b64 s[60:61], 0                                      // 000000007DDC: BEBC0180
	v_readlane_b32 s82, v3, 4                                  // 000000007DE0: D2890052 00010903
	s_and_b32 s82, s82, 0xffffff                               // 000000007DE8: 8652FF52 00FFFFFF
	s_cmp_lt_u32 s82, s66                                      // 000000007DF0: BF0A4252
	s_cselect_b32 s20, s36, s60                                // 000000007DF4: 85143C24
	v_readlane_b32 s82, v3, 5                                  // 000000007DF8: D2890052 00010B03
	s_and_b32 s82, s82, 0xffffff                               // 000000007E00: 8652FF52 00FFFFFF
	s_cmp_lt_u32 s82, s66                                      // 000000007E08: BF0A4252
	s_cselect_b32 s21, s36, s60                                // 000000007E0C: 85153C24
	s_mov_b64 exec, s[20:21]                                   // 000000007E10: BEFE0114
	buffer_store_dword v60, v6, s[8:11], 0 offen               // 000000007E14: E0701000 80023C06
	buffer_store_dword v62, v6, s[8:11], 0 offen offset:128    // 000000007E1C: E0701080 80023E06
	s_mov_b64 exec, s[36:37]                                   // 000000007E24: BEFE0124
	v_mov_b32_e32 v6, v47                                      // 000000007E28: 7E0C032F
	s_mov_b64 s[60:61], 0                                      // 000000007E2C: BEBC0180
	v_readlane_b32 s82, v3, 6                                  // 000000007E30: D2890052 00010D03
	s_and_b32 s82, s82, 0xffffff                               // 000000007E38: 8652FF52 00FFFFFF
	s_cmp_lt_u32 s82, s66                                      // 000000007E40: BF0A4252
	s_cselect_b32 s20, s36, s60                                // 000000007E44: 85143C24
	v_readlane_b32 s82, v3, 7                                  // 000000007E48: D2890052 00010F03
	s_and_b32 s82, s82, 0xffffff                               // 000000007E50: 8652FF52 00FFFFFF
	s_cmp_lt_u32 s82, s66                                      // 000000007E58: BF0A4252
	s_cselect_b32 s21, s36, s60                                // 000000007E5C: 85153C24
	s_mov_b64 exec, s[20:21]                                   // 000000007E60: BEFE0114
	buffer_store_dword v61, v6, s[8:11], 0 offen               // 000000007E64: E0701000 80023D06
	buffer_store_dword v63, v6, s[8:11], 0 offen offset:128    // 000000007E6C: E0701080 80023F06
	s_mov_b64 exec, s[36:37]                                   // 000000007E74: BEFE0124
	v_mov_b32_e32 v6, v48                                      // 000000007E78: 7E0C0330
	s_mov_b64 s[60:61], 0                                      // 000000007E7C: BEBC0180
	v_readlane_b32 s82, v3, 8                                  // 000000007E80: D2890052 00011103
	s_and_b32 s82, s82, 0xffffff                               // 000000007E88: 8652FF52 00FFFFFF
	s_cmp_lt_u32 s82, s66                                      // 000000007E90: BF0A4252
	s_cselect_b32 s20, s36, s60                                // 000000007E94: 85143C24
	v_readlane_b32 s82, v3, 9                                  // 000000007E98: D2890052 00011303
	s_and_b32 s82, s82, 0xffffff                               // 000000007EA0: 8652FF52 00FFFFFF
	s_cmp_lt_u32 s82, s66                                      // 000000007EA8: BF0A4252
	s_cselect_b32 s21, s36, s60                                // 000000007EAC: 85153C24
	s_mov_b64 exec, s[20:21]                                   // 000000007EB0: BEFE0114
	buffer_store_dword v64, v6, s[8:11], 0 offen               // 000000007EB4: E0701000 80024006
	buffer_store_dword v66, v6, s[8:11], 0 offen offset:128    // 000000007EBC: E0701080 80024206
	s_mov_b64 exec, s[36:37]                                   // 000000007EC4: BEFE0124
	v_mov_b32_e32 v6, v49                                      // 000000007EC8: 7E0C0331
	s_mov_b64 s[60:61], 0                                      // 000000007ECC: BEBC0180
	v_readlane_b32 s82, v3, 10                                 // 000000007ED0: D2890052 00011503
	s_and_b32 s82, s82, 0xffffff                               // 000000007ED8: 8652FF52 00FFFFFF
	s_cmp_lt_u32 s82, s66                                      // 000000007EE0: BF0A4252
	s_cselect_b32 s20, s36, s60                                // 000000007EE4: 85143C24
	v_readlane_b32 s82, v3, 11                                 // 000000007EE8: D2890052 00011703
	s_and_b32 s82, s82, 0xffffff                               // 000000007EF0: 8652FF52 00FFFFFF
	s_cmp_lt_u32 s82, s66                                      // 000000007EF8: BF0A4252
	s_cselect_b32 s21, s36, s60                                // 000000007EFC: 85153C24
	s_mov_b64 exec, s[20:21]                                   // 000000007F00: BEFE0114
	buffer_store_dword v65, v6, s[8:11], 0 offen               // 000000007F04: E0701000 80024106
	buffer_store_dword v67, v6, s[8:11], 0 offen offset:128    // 000000007F0C: E0701080 80024306
	s_mov_b64 exec, s[36:37]                                   // 000000007F14: BEFE0124
	v_mov_b32_e32 v6, v50                                      // 000000007F18: 7E0C0332
	s_mov_b64 s[60:61], 0                                      // 000000007F1C: BEBC0180
	v_readlane_b32 s82, v3, 12                                 // 000000007F20: D2890052 00011903
	s_and_b32 s82, s82, 0xffffff                               // 000000007F28: 8652FF52 00FFFFFF
	s_cmp_lt_u32 s82, s66                                      // 000000007F30: BF0A4252
	s_cselect_b32 s20, s36, s60                                // 000000007F34: 85143C24
	v_readlane_b32 s82, v3, 13                                 // 000000007F38: D2890052 00011B03
	s_and_b32 s82, s82, 0xffffff                               // 000000007F40: 8652FF52 00FFFFFF
	s_cmp_lt_u32 s82, s66                                      // 000000007F48: BF0A4252
	s_cselect_b32 s21, s36, s60                                // 000000007F4C: 85153C24
	s_mov_b64 exec, s[20:21]                                   // 000000007F50: BEFE0114
	buffer_store_dword v68, v6, s[8:11], 0 offen               // 000000007F54: E0701000 80024406
	buffer_store_dword v70, v6, s[8:11], 0 offen offset:128    // 000000007F5C: E0701080 80024606
	s_mov_b64 exec, s[36:37]                                   // 000000007F64: BEFE0124
	v_mov_b32_e32 v6, v51                                      // 000000007F68: 7E0C0333
	s_mov_b64 s[60:61], 0                                      // 000000007F6C: BEBC0180
	v_readlane_b32 s82, v3, 14                                 // 000000007F70: D2890052 00011D03
	s_and_b32 s82, s82, 0xffffff                               // 000000007F78: 8652FF52 00FFFFFF
	s_cmp_lt_u32 s82, s66                                      // 000000007F80: BF0A4252
	s_cselect_b32 s20, s36, s60                                // 000000007F84: 85143C24
	v_readlane_b32 s82, v3, 15                                 // 000000007F88: D2890052 00011F03
	s_and_b32 s82, s82, 0xffffff                               // 000000007F90: 8652FF52 00FFFFFF
	s_cmp_lt_u32 s82, s66                                      // 000000007F98: BF0A4252
	s_cselect_b32 s21, s36, s60                                // 000000007F9C: 85153C24
	s_mov_b64 exec, s[20:21]                                   // 000000007FA0: BEFE0114
	buffer_store_dword v69, v6, s[8:11], 0 offen               // 000000007FA4: E0701000 80024506
	buffer_store_dword v71, v6, s[8:11], 0 offen offset:128    // 000000007FAC: E0701080 80024706
	s_mov_b64 exec, s[36:37]                                   // 000000007FB4: BEFE0124
	s_branch label_198C                                        // 000000007FB8: BF82041A

0000000000007fbc <label_1572>:
	ds_write_b64 v20, v[56:57]                                 // 000000007FBC: D89A0000 00003814
	ds_write_b64 v20, v[60:61] offset:4352                     // 000000007FC4: D89A1100 00003C14
	ds_write_b64 v20, v[64:65] offset:8704                     // 000000007FCC: D89A2200 00004014
	ds_write_b64 v20, v[68:69] offset:13056                    // 000000007FD4: D89A3300 00004414
	ds_write_b64 v20, v[72:73] offset:2176                     // 000000007FDC: D89A0880 00004814
	ds_write_b64 v20, v[76:77] offset:6528                     // 000000007FE4: D89A1980 00004C14
	ds_write_b64 v20, v[80:81] offset:10880                    // 000000007FEC: D89A2A80 00005014
	ds_write_b64 v20, v[84:85] offset:15232                    // 000000007FF4: D89A3B80 00005414
	v_lshrrev_b32_e32 v4, 5, v0                                // 000000007FFC: 20080085
	v_xor_b32_e32 v5, 1, v4                                    // 000000008000: 2A0A0881
	s_mul_i32 s60, s65, 2                                      // 000000008004: 923C8241
	s_cmp_eq_u32 s88, 0                                        // 000000008008: BF068058
	s_cselect_b32 s61, 1, 4                                    // 00000000800C: 853D8481
	s_mul_i32 s60, s61, s60                                    // 000000008010: 923C3C3D
	v_readlane_b32 s82, v3, 0                                  // 000000008014: D2890052 00010103
	s_lshr_b32 s61, s82, 24                                    // 00000000801C: 8F3D9852
	s_and_b32 s82, s82, 0xffffff                               // 000000008020: 8652FF52 00FFFFFF
	s_mul_i32 s82, s82, s71                                    // 000000008028: 92524752
	s_mul_i32 s61, s60, s61                                    // 00000000802C: 923D3D3C
	s_add_u32 s82, s82, s61                                    // 000000008030: 80523D52
	v_mul_lo_u32 v6, v5, s82                                   // 000000008034: D2850006 0000A505
	v_readlane_b32 s82, v3, 1                                  // 00000000803C: D2890052 00010303
	s_lshr_b32 s61, s82, 24                                    // 000000008044: 8F3D9852
	s_and_b32 s82, s82, 0xffffff                               // 000000008048: 8652FF52 00FFFFFF
	s_mul_i32 s82, s82, s71                                    // 000000008050: 92524752
	s_mul_i32 s61, s60, s61                                    // 000000008054: 923D3D3C
	s_add_u32 s82, s82, s61                                    // 000000008058: 80523D52
	v_mul_lo_u32 v7, v4, s82                                   // 00000000805C: D2850007 0000A504
	v_add_u32_e32 v44, v6, v7                                  // 000000008064: 68580F06
	v_readlane_b32 s82, v3, 2                                  // 000000008068: D2890052 00010503
	s_lshr_b32 s61, s82, 24                                    // 000000008070: 8F3D9852
	s_and_b32 s82, s82, 0xffffff                               // 000000008074: 8652FF52 00FFFFFF
	s_mul_i32 s82, s82, s71                                    // 00000000807C: 92524752
	s_mul_i32 s61, s60, s61                                    // 000000008080: 923D3D3C
	s_add_u32 s82, s82, s61                                    // 000000008084: 80523D52
	v_mul_lo_u32 v6, v5, s82                                   // 000000008088: D2850006 0000A505
	v_readlane_b32 s82, v3, 3                                  // 000000008090: D2890052 00010703
	s_lshr_b32 s61, s82, 24                                    // 000000008098: 8F3D9852
	s_and_b32 s82, s82, 0xffffff                               // 00000000809C: 8652FF52 00FFFFFF
	s_mul_i32 s82, s82, s71                                    // 0000000080A4: 92524752
	s_mul_i32 s61, s60, s61                                    // 0000000080A8: 923D3D3C
	s_add_u32 s82, s82, s61                                    // 0000000080AC: 80523D52
	v_mul_lo_u32 v7, v4, s82                                   // 0000000080B0: D2850007 0000A504
	v_add_u32_e32 v45, v6, v7                                  // 0000000080B8: 685A0F06
	v_readlane_b32 s82, v3, 4                                  // 0000000080BC: D2890052 00010903
	s_lshr_b32 s61, s82, 24                                    // 0000000080C4: 8F3D9852
	s_and_b32 s82, s82, 0xffffff                               // 0000000080C8: 8652FF52 00FFFFFF
	s_mul_i32 s82, s82, s71                                    // 0000000080D0: 92524752
	s_mul_i32 s61, s60, s61                                    // 0000000080D4: 923D3D3C
	s_add_u32 s82, s82, s61                                    // 0000000080D8: 80523D52
	v_mul_lo_u32 v6, v5, s82                                   // 0000000080DC: D2850006 0000A505
	v_readlane_b32 s82, v3, 5                                  // 0000000080E4: D2890052 00010B03
	s_lshr_b32 s61, s82, 24                                    // 0000000080EC: 8F3D9852
	s_and_b32 s82, s82, 0xffffff                               // 0000000080F0: 8652FF52 00FFFFFF
	s_mul_i32 s82, s82, s71                                    // 0000000080F8: 92524752
	s_mul_i32 s61, s60, s61                                    // 0000000080FC: 923D3D3C
	s_add_u32 s82, s82, s61                                    // 000000008100: 80523D52
	v_mul_lo_u32 v7, v4, s82                                   // 000000008104: D2850007 0000A504
	v_add_u32_e32 v46, v6, v7                                  // 00000000810C: 685C0F06
	v_readlane_b32 s82, v3, 6                                  // 000000008110: D2890052 00010D03
	s_lshr_b32 s61, s82, 24                                    // 000000008118: 8F3D9852
	s_and_b32 s82, s82, 0xffffff                               // 00000000811C: 8652FF52 00FFFFFF
	s_mul_i32 s82, s82, s71                                    // 000000008124: 92524752
	s_mul_i32 s61, s60, s61                                    // 000000008128: 923D3D3C
	s_add_u32 s82, s82, s61                                    // 00000000812C: 80523D52
	v_mul_lo_u32 v6, v5, s82                                   // 000000008130: D2850006 0000A505
	v_readlane_b32 s82, v3, 7                                  // 000000008138: D2890052 00010F03
	s_lshr_b32 s61, s82, 24                                    // 000000008140: 8F3D9852
	s_and_b32 s82, s82, 0xffffff                               // 000000008144: 8652FF52 00FFFFFF
	s_mul_i32 s82, s82, s71                                    // 00000000814C: 92524752
	s_mul_i32 s61, s60, s61                                    // 000000008150: 923D3D3C
	s_add_u32 s82, s82, s61                                    // 000000008154: 80523D52
	v_mul_lo_u32 v7, v4, s82                                   // 000000008158: D2850007 0000A504
	v_add_u32_e32 v47, v6, v7                                  // 000000008160: 685E0F06
	v_readlane_b32 s82, v3, 8                                  // 000000008164: D2890052 00011103
	s_lshr_b32 s61, s82, 24                                    // 00000000816C: 8F3D9852
	s_and_b32 s82, s82, 0xffffff                               // 000000008170: 8652FF52 00FFFFFF
	s_mul_i32 s82, s82, s71                                    // 000000008178: 92524752
	s_mul_i32 s61, s60, s61                                    // 00000000817C: 923D3D3C
	s_add_u32 s82, s82, s61                                    // 000000008180: 80523D52
	v_mul_lo_u32 v6, v5, s82                                   // 000000008184: D2850006 0000A505
	v_readlane_b32 s82, v3, 9                                  // 00000000818C: D2890052 00011303
	s_lshr_b32 s61, s82, 24                                    // 000000008194: 8F3D9852
	s_and_b32 s82, s82, 0xffffff                               // 000000008198: 8652FF52 00FFFFFF
	s_mul_i32 s82, s82, s71                                    // 0000000081A0: 92524752
	s_mul_i32 s61, s60, s61                                    // 0000000081A4: 923D3D3C
	s_add_u32 s82, s82, s61                                    // 0000000081A8: 80523D52
	v_mul_lo_u32 v7, v4, s82                                   // 0000000081AC: D2850007 0000A504
	v_add_u32_e32 v48, v6, v7                                  // 0000000081B4: 68600F06
	v_readlane_b32 s82, v3, 10                                 // 0000000081B8: D2890052 00011503
	s_lshr_b32 s61, s82, 24                                    // 0000000081C0: 8F3D9852
	s_and_b32 s82, s82, 0xffffff                               // 0000000081C4: 8652FF52 00FFFFFF
	s_mul_i32 s82, s82, s71                                    // 0000000081CC: 92524752
	s_mul_i32 s61, s60, s61                                    // 0000000081D0: 923D3D3C
	s_add_u32 s82, s82, s61                                    // 0000000081D4: 80523D52
	v_mul_lo_u32 v6, v5, s82                                   // 0000000081D8: D2850006 0000A505
	v_readlane_b32 s82, v3, 11                                 // 0000000081E0: D2890052 00011703
	s_lshr_b32 s61, s82, 24                                    // 0000000081E8: 8F3D9852
	s_and_b32 s82, s82, 0xffffff                               // 0000000081EC: 8652FF52 00FFFFFF
	s_mul_i32 s82, s82, s71                                    // 0000000081F4: 92524752
	s_mul_i32 s61, s60, s61                                    // 0000000081F8: 923D3D3C
	s_add_u32 s82, s82, s61                                    // 0000000081FC: 80523D52
	v_mul_lo_u32 v7, v4, s82                                   // 000000008200: D2850007 0000A504
	v_add_u32_e32 v49, v6, v7                                  // 000000008208: 68620F06
	v_readlane_b32 s82, v3, 12                                 // 00000000820C: D2890052 00011903
	s_lshr_b32 s61, s82, 24                                    // 000000008214: 8F3D9852
	s_and_b32 s82, s82, 0xffffff                               // 000000008218: 8652FF52 00FFFFFF
	s_mul_i32 s82, s82, s71                                    // 000000008220: 92524752
	s_mul_i32 s61, s60, s61                                    // 000000008224: 923D3D3C
	s_add_u32 s82, s82, s61                                    // 000000008228: 80523D52
	v_mul_lo_u32 v6, v5, s82                                   // 00000000822C: D2850006 0000A505
	v_readlane_b32 s82, v3, 13                                 // 000000008234: D2890052 00011B03
	s_lshr_b32 s61, s82, 24                                    // 00000000823C: 8F3D9852
	s_and_b32 s82, s82, 0xffffff                               // 000000008240: 8652FF52 00FFFFFF
	s_mul_i32 s82, s82, s71                                    // 000000008248: 92524752
	s_mul_i32 s61, s60, s61                                    // 00000000824C: 923D3D3C
	s_add_u32 s82, s82, s61                                    // 000000008250: 80523D52
	v_mul_lo_u32 v7, v4, s82                                   // 000000008254: D2850007 0000A504
	v_add_u32_e32 v50, v6, v7                                  // 00000000825C: 68640F06
	v_readlane_b32 s82, v3, 14                                 // 000000008260: D2890052 00011D03
	s_lshr_b32 s61, s82, 24                                    // 000000008268: 8F3D9852
	s_and_b32 s82, s82, 0xffffff                               // 00000000826C: 8652FF52 00FFFFFF
	s_mul_i32 s82, s82, s71                                    // 000000008274: 92524752
	s_mul_i32 s61, s60, s61                                    // 000000008278: 923D3D3C
	s_add_u32 s82, s82, s61                                    // 00000000827C: 80523D52
	v_mul_lo_u32 v6, v5, s82                                   // 000000008280: D2850006 0000A505
	v_readlane_b32 s82, v3, 15                                 // 000000008288: D2890052 00011F03
	s_lshr_b32 s61, s82, 24                                    // 000000008290: 8F3D9852
	s_and_b32 s82, s82, 0xffffff                               // 000000008294: 8652FF52 00FFFFFF
	s_mul_i32 s82, s82, s71                                    // 00000000829C: 92524752
	s_mul_i32 s61, s60, s61                                    // 0000000082A0: 923D3D3C
	s_add_u32 s82, s82, s61                                    // 0000000082A4: 80523D52
	v_mul_lo_u32 v7, v4, s82                                   // 0000000082A8: D2850007 0000A504
	v_add_u32_e32 v51, v6, v7                                  // 0000000082B0: 68660F06
	v_and_b32_e32 v4, 31, v0                                   // 0000000082B4: 2608009F
	v_lshrrev_b32_e32 v4, 1, v4                                // 0000000082B8: 20080881
	s_cmp_eq_u32 s88, 0                                        // 0000000082BC: BF068058
	s_cselect_b32 s61, 2, 4                                    // 0000000082C0: 853D8482
	v_mul_lo_u32 v4, v4, s61                                   // 0000000082C4: D2850004 00007B04
	v_and_b32_e64 v5, v0, 1                                    // 0000000082CC: D1130005 00010300
	v_add_u32_e32 v4, v4, v5                                   // 0000000082D4: 68080B04
	v_lshlrev_b32_e32 v4, 2, v4                                // 0000000082D8: 24080882
	v_add_u32_e32 v44, v44, v4                                 // 0000000082DC: 6858092C
	v_add_u32_e32 v45, v45, v4                                 // 0000000082E0: 685A092D
	v_add_u32_e32 v46, v46, v4                                 // 0000000082E4: 685C092E
	v_add_u32_e32 v47, v47, v4                                 // 0000000082E8: 685E092F
	v_add_u32_e32 v48, v48, v4                                 // 0000000082EC: 68600930
	v_add_u32_e32 v49, v49, v4                                 // 0000000082F0: 68620931
	v_add_u32_e32 v50, v50, v4                                 // 0000000082F4: 68640932
	v_add_u32_e32 v51, v51, v4                                 // 0000000082F8: 68660933
	s_waitcnt lgkmcnt(0)                                       // 0000000082FC: BF8CC07F
	s_barrier                                                  // 000000008300: BF8A0000
	ds_read_b32 v56, v21                                       // 000000008304: D86C0000 38000015
	ds_read_b32 v57, v21 offset:64                             // 00000000830C: D86C0040 39000015
	ds_read_b32 v60, v21 offset:2176                           // 000000008314: D86C0880 3C000015
	ds_read_b32 v61, v21 offset:2240                           // 00000000831C: D86C08C0 3D000015
	ds_read_b32 v64, v21 offset:4352                           // 000000008324: D86C1100 40000015
	ds_read_b32 v65, v21 offset:4416                           // 00000000832C: D86C1140 41000015
	ds_read_b32 v68, v21 offset:6528                           // 000000008334: D86C1980 44000015
	ds_read_b32 v69, v21 offset:6592                           // 00000000833C: D86C19C0 45000015
	ds_read_b32 v72, v21 offset:8704                           // 000000008344: D86C2200 48000015
	ds_read_b32 v73, v21 offset:8768                           // 00000000834C: D86C2240 49000015
	ds_read_b32 v76, v21 offset:10880                          // 000000008354: D86C2A80 4C000015
	ds_read_b32 v77, v21 offset:10944                          // 00000000835C: D86C2AC0 4D000015
	ds_read_b32 v80, v21 offset:13056                          // 000000008364: D86C3300 50000015
	ds_read_b32 v81, v21 offset:13120                          // 00000000836C: D86C3340 51000015
	ds_read_b32 v84, v21 offset:15232                          // 000000008374: D86C3B80 54000015
	ds_read_b32 v85, v21 offset:15296                          // 00000000837C: D86C3BC0 55000015
	s_waitcnt lgkmcnt(0)                                       // 000000008384: BF8CC07F
	s_mov_b32 s36, -1                                          // 000000008388: BEA400C1
	s_mov_b32 s37, -1                                          // 00000000838C: BEA500C1
	v_mov_b32_e32 v7, 0                                        // 000000008390: 7E0E0280
	s_mov_b64 exec, s[36:37]                                   // 000000008394: BEFE0124
	v_mov_b32_e32 v6, v44                                      // 000000008398: 7E0C032C
	s_mov_b64 s[60:61], 0                                      // 00000000839C: BEBC0180
	v_readlane_b32 s82, v3, 0                                  // 0000000083A0: D2890052 00010103
	s_and_b32 s82, s82, 0xffffff                               // 0000000083A8: 8652FF52 00FFFFFF
	s_cmp_lt_u32 s82, s66                                      // 0000000083B0: BF0A4252
	s_cselect_b32 s20, s36, s60                                // 0000000083B4: 85143C24
	v_readlane_b32 s82, v3, 1                                  // 0000000083B8: D2890052 00010303
	s_and_b32 s82, s82, 0xffffff                               // 0000000083C0: 8652FF52 00FFFFFF
	s_cmp_lt_u32 s82, s66                                      // 0000000083C8: BF0A4252
	s_cselect_b32 s21, s36, s60                                // 0000000083CC: 85153C24
	s_mov_b64 exec, s[20:21]                                   // 0000000083D0: BEFE0114
	global_atomic_add_f32 v6, v56, s[8:9]                      // 0000000083D4: DD348000 00083806
	global_atomic_add_f32 v6, v60, s[8:9] offset:256           // 0000000083DC: DD348100 00083C06
	s_mov_b64 exec, s[36:37]                                   // 0000000083E4: BEFE0124
	v_mov_b32_e32 v6, v45                                      // 0000000083E8: 7E0C032D
	s_mov_b64 s[60:61], 0                                      // 0000000083EC: BEBC0180
	v_readlane_b32 s82, v3, 2                                  // 0000000083F0: D2890052 00010503
	s_and_b32 s82, s82, 0xffffff                               // 0000000083F8: 8652FF52 00FFFFFF
	s_cmp_lt_u32 s82, s66                                      // 000000008400: BF0A4252
	s_cselect_b32 s20, s36, s60                                // 000000008404: 85143C24
	v_readlane_b32 s82, v3, 3                                  // 000000008408: D2890052 00010703
	s_and_b32 s82, s82, 0xffffff                               // 000000008410: 8652FF52 00FFFFFF
	s_cmp_lt_u32 s82, s66                                      // 000000008418: BF0A4252
	s_cselect_b32 s21, s36, s60                                // 00000000841C: 85153C24
	s_mov_b64 exec, s[20:21]                                   // 000000008420: BEFE0114
	global_atomic_add_f32 v6, v57, s[8:9]                      // 000000008424: DD348000 00083906
	global_atomic_add_f32 v6, v61, s[8:9] offset:256           // 00000000842C: DD348100 00083D06
	s_mov_b64 exec, s[36:37]                                   // 000000008434: BEFE0124
	v_mov_b32_e32 v6, v46                                      // 000000008438: 7E0C032E
	s_mov_b64 s[60:61], 0                                      // 00000000843C: BEBC0180
	v_readlane_b32 s82, v3, 4                                  // 000000008440: D2890052 00010903
	s_and_b32 s82, s82, 0xffffff                               // 000000008448: 8652FF52 00FFFFFF
	s_cmp_lt_u32 s82, s66                                      // 000000008450: BF0A4252
	s_cselect_b32 s20, s36, s60                                // 000000008454: 85143C24
	v_readlane_b32 s82, v3, 5                                  // 000000008458: D2890052 00010B03
	s_and_b32 s82, s82, 0xffffff                               // 000000008460: 8652FF52 00FFFFFF
	s_cmp_lt_u32 s82, s66                                      // 000000008468: BF0A4252
	s_cselect_b32 s21, s36, s60                                // 00000000846C: 85153C24
	s_mov_b64 exec, s[20:21]                                   // 000000008470: BEFE0114
	global_atomic_add_f32 v6, v64, s[8:9]                      // 000000008474: DD348000 00084006
	global_atomic_add_f32 v6, v68, s[8:9] offset:256           // 00000000847C: DD348100 00084406
	s_mov_b64 exec, s[36:37]                                   // 000000008484: BEFE0124
	v_mov_b32_e32 v6, v47                                      // 000000008488: 7E0C032F
	s_mov_b64 s[60:61], 0                                      // 00000000848C: BEBC0180
	v_readlane_b32 s82, v3, 6                                  // 000000008490: D2890052 00010D03
	s_and_b32 s82, s82, 0xffffff                               // 000000008498: 8652FF52 00FFFFFF
	s_cmp_lt_u32 s82, s66                                      // 0000000084A0: BF0A4252
	s_cselect_b32 s20, s36, s60                                // 0000000084A4: 85143C24
	v_readlane_b32 s82, v3, 7                                  // 0000000084A8: D2890052 00010F03
	s_and_b32 s82, s82, 0xffffff                               // 0000000084B0: 8652FF52 00FFFFFF
	s_cmp_lt_u32 s82, s66                                      // 0000000084B8: BF0A4252
	s_cselect_b32 s21, s36, s60                                // 0000000084BC: 85153C24
	s_mov_b64 exec, s[20:21]                                   // 0000000084C0: BEFE0114
	global_atomic_add_f32 v6, v65, s[8:9]                      // 0000000084C4: DD348000 00084106
	global_atomic_add_f32 v6, v69, s[8:9] offset:256           // 0000000084CC: DD348100 00084506
	s_mov_b64 exec, s[36:37]                                   // 0000000084D4: BEFE0124
	v_mov_b32_e32 v6, v48                                      // 0000000084D8: 7E0C0330
	s_mov_b64 s[60:61], 0                                      // 0000000084DC: BEBC0180
	v_readlane_b32 s82, v3, 8                                  // 0000000084E0: D2890052 00011103
	s_and_b32 s82, s82, 0xffffff                               // 0000000084E8: 8652FF52 00FFFFFF
	s_cmp_lt_u32 s82, s66                                      // 0000000084F0: BF0A4252
	s_cselect_b32 s20, s36, s60                                // 0000000084F4: 85143C24
	v_readlane_b32 s82, v3, 9                                  // 0000000084F8: D2890052 00011303
	s_and_b32 s82, s82, 0xffffff                               // 000000008500: 8652FF52 00FFFFFF
	s_cmp_lt_u32 s82, s66                                      // 000000008508: BF0A4252
	s_cselect_b32 s21, s36, s60                                // 00000000850C: 85153C24
	s_mov_b64 exec, s[20:21]                                   // 000000008510: BEFE0114
	global_atomic_add_f32 v6, v72, s[8:9]                      // 000000008514: DD348000 00084806
	global_atomic_add_f32 v6, v76, s[8:9] offset:256           // 00000000851C: DD348100 00084C06
	s_mov_b64 exec, s[36:37]                                   // 000000008524: BEFE0124
	v_mov_b32_e32 v6, v49                                      // 000000008528: 7E0C0331
	s_mov_b64 s[60:61], 0                                      // 00000000852C: BEBC0180
	v_readlane_b32 s82, v3, 10                                 // 000000008530: D2890052 00011503
	s_and_b32 s82, s82, 0xffffff                               // 000000008538: 8652FF52 00FFFFFF
	s_cmp_lt_u32 s82, s66                                      // 000000008540: BF0A4252
	s_cselect_b32 s20, s36, s60                                // 000000008544: 85143C24
	v_readlane_b32 s82, v3, 11                                 // 000000008548: D2890052 00011703
	s_and_b32 s82, s82, 0xffffff                               // 000000008550: 8652FF52 00FFFFFF
	s_cmp_lt_u32 s82, s66                                      // 000000008558: BF0A4252
	s_cselect_b32 s21, s36, s60                                // 00000000855C: 85153C24
	s_mov_b64 exec, s[20:21]                                   // 000000008560: BEFE0114
	global_atomic_add_f32 v6, v73, s[8:9]                      // 000000008564: DD348000 00084906
	global_atomic_add_f32 v6, v77, s[8:9] offset:256           // 00000000856C: DD348100 00084D06
	s_mov_b64 exec, s[36:37]                                   // 000000008574: BEFE0124
	v_mov_b32_e32 v6, v50                                      // 000000008578: 7E0C0332
	s_mov_b64 s[60:61], 0                                      // 00000000857C: BEBC0180
	v_readlane_b32 s82, v3, 12                                 // 000000008580: D2890052 00011903
	s_and_b32 s82, s82, 0xffffff                               // 000000008588: 8652FF52 00FFFFFF
	s_cmp_lt_u32 s82, s66                                      // 000000008590: BF0A4252
	s_cselect_b32 s20, s36, s60                                // 000000008594: 85143C24
	v_readlane_b32 s82, v3, 13                                 // 000000008598: D2890052 00011B03
	s_and_b32 s82, s82, 0xffffff                               // 0000000085A0: 8652FF52 00FFFFFF
	s_cmp_lt_u32 s82, s66                                      // 0000000085A8: BF0A4252
	s_cselect_b32 s21, s36, s60                                // 0000000085AC: 85153C24
	s_mov_b64 exec, s[20:21]                                   // 0000000085B0: BEFE0114
	global_atomic_add_f32 v6, v80, s[8:9]                      // 0000000085B4: DD348000 00085006
	global_atomic_add_f32 v6, v84, s[8:9] offset:256           // 0000000085BC: DD348100 00085406
	s_mov_b64 exec, s[36:37]                                   // 0000000085C4: BEFE0124
	v_mov_b32_e32 v6, v51                                      // 0000000085C8: 7E0C0333
	s_mov_b64 s[60:61], 0                                      // 0000000085CC: BEBC0180
	v_readlane_b32 s82, v3, 14                                 // 0000000085D0: D2890052 00011D03
	s_and_b32 s82, s82, 0xffffff                               // 0000000085D8: 8652FF52 00FFFFFF
	s_cmp_lt_u32 s82, s66                                      // 0000000085E0: BF0A4252
	s_cselect_b32 s20, s36, s60                                // 0000000085E4: 85143C24
	v_readlane_b32 s82, v3, 15                                 // 0000000085E8: D2890052 00011F03
	s_and_b32 s82, s82, 0xffffff                               // 0000000085F0: 8652FF52 00FFFFFF
	s_cmp_lt_u32 s82, s66                                      // 0000000085F8: BF0A4252
	s_cselect_b32 s21, s36, s60                                // 0000000085FC: 85153C24
	s_mov_b64 exec, s[20:21]                                   // 000000008600: BEFE0114
	global_atomic_add_f32 v6, v81, s[8:9]                      // 000000008604: DD348000 00085106
	global_atomic_add_f32 v6, v85, s[8:9] offset:256           // 00000000860C: DD348100 00085506
	s_mov_b64 exec, s[36:37]                                   // 000000008614: BEFE0124
	ds_write_b64 v20, v[58:59]                                 // 000000008618: D89A0000 00003A14
	ds_write_b64 v20, v[62:63] offset:4352                     // 000000008620: D89A1100 00003E14
	ds_write_b64 v20, v[66:67] offset:8704                     // 000000008628: D89A2200 00004214
	ds_write_b64 v20, v[70:71] offset:13056                    // 000000008630: D89A3300 00004614
	ds_write_b64 v20, v[74:75] offset:2176                     // 000000008638: D89A0880 00004A14
	ds_write_b64 v20, v[78:79] offset:6528                     // 000000008640: D89A1980 00004E14
	ds_write_b64 v20, v[82:83] offset:10880                    // 000000008648: D89A2A80 00005214
	ds_write_b64 v20, v[86:87] offset:15232                    // 000000008650: D89A3B80 00005614
	s_waitcnt lgkmcnt(0)                                       // 000000008658: BF8CC07F
	s_barrier                                                  // 00000000865C: BF8A0000
	ds_read_b32 v58, v21                                       // 000000008660: D86C0000 3A000015
	ds_read_b32 v59, v21 offset:64                             // 000000008668: D86C0040 3B000015
	ds_read_b32 v62, v21 offset:2176                           // 000000008670: D86C0880 3E000015
	ds_read_b32 v63, v21 offset:2240                           // 000000008678: D86C08C0 3F000015
	ds_read_b32 v66, v21 offset:4352                           // 000000008680: D86C1100 42000015
	ds_read_b32 v67, v21 offset:4416                           // 000000008688: D86C1140 43000015
	ds_read_b32 v70, v21 offset:6528                           // 000000008690: D86C1980 46000015
	ds_read_b32 v71, v21 offset:6592                           // 000000008698: D86C19C0 47000015
	ds_read_b32 v74, v21 offset:8704                           // 0000000086A0: D86C2200 4A000015
	ds_read_b32 v75, v21 offset:8768                           // 0000000086A8: D86C2240 4B000015
	ds_read_b32 v78, v21 offset:10880                          // 0000000086B0: D86C2A80 4E000015
	ds_read_b32 v79, v21 offset:10944                          // 0000000086B8: D86C2AC0 4F000015
	ds_read_b32 v82, v21 offset:13056                          // 0000000086C0: D86C3300 52000015
	ds_read_b32 v83, v21 offset:13120                          // 0000000086C8: D86C3340 53000015
	ds_read_b32 v86, v21 offset:15232                          // 0000000086D0: D86C3B80 56000015
	ds_read_b32 v87, v21 offset:15296                          // 0000000086D8: D86C3BC0 57000015
	s_waitcnt lgkmcnt(0)                                       // 0000000086E0: BF8CC07F
	v_mov_b32_e32 v7, 0                                        // 0000000086E4: 7E0E0280
	s_mov_b64 exec, s[36:37]                                   // 0000000086E8: BEFE0124
	v_mov_b32_e32 v6, v44                                      // 0000000086EC: 7E0C032C
	s_mov_b64 s[60:61], 0                                      // 0000000086F0: BEBC0180
	v_readlane_b32 s82, v3, 0                                  // 0000000086F4: D2890052 00010103
	s_and_b32 s82, s82, 0xffffff                               // 0000000086FC: 8652FF52 00FFFFFF
	s_cmp_lt_u32 s82, s66                                      // 000000008704: BF0A4252
	s_cselect_b32 s20, s36, s60                                // 000000008708: 85143C24
	v_readlane_b32 s82, v3, 1                                  // 00000000870C: D2890052 00010303
	s_and_b32 s82, s82, 0xffffff                               // 000000008714: 8652FF52 00FFFFFF
	s_cmp_lt_u32 s82, s66                                      // 00000000871C: BF0A4252
	s_cselect_b32 s21, s36, s60                                // 000000008720: 85153C24
	s_mov_b64 exec, s[20:21]                                   // 000000008724: BEFE0114
	global_atomic_add_f32 v6, v58, s[8:9] offset:8             // 000000008728: DD348008 00083A06
	global_atomic_add_f32 v6, v62, s[8:9] offset:264           // 000000008730: DD348108 00083E06
	s_mov_b64 exec, s[36:37]                                   // 000000008738: BEFE0124
	v_mov_b32_e32 v6, v45                                      // 00000000873C: 7E0C032D
	s_mov_b64 s[60:61], 0                                      // 000000008740: BEBC0180
	v_readlane_b32 s82, v3, 2                                  // 000000008744: D2890052 00010503
	s_and_b32 s82, s82, 0xffffff                               // 00000000874C: 8652FF52 00FFFFFF
	s_cmp_lt_u32 s82, s66                                      // 000000008754: BF0A4252
	s_cselect_b32 s20, s36, s60                                // 000000008758: 85143C24
	v_readlane_b32 s82, v3, 3                                  // 00000000875C: D2890052 00010703
	s_and_b32 s82, s82, 0xffffff                               // 000000008764: 8652FF52 00FFFFFF
	s_cmp_lt_u32 s82, s66                                      // 00000000876C: BF0A4252
	s_cselect_b32 s21, s36, s60                                // 000000008770: 85153C24
	s_mov_b64 exec, s[20:21]                                   // 000000008774: BEFE0114
	global_atomic_add_f32 v6, v59, s[8:9] offset:8             // 000000008778: DD348008 00083B06
	global_atomic_add_f32 v6, v63, s[8:9] offset:264           // 000000008780: DD348108 00083F06
	s_mov_b64 exec, s[36:37]                                   // 000000008788: BEFE0124
	v_mov_b32_e32 v6, v46                                      // 00000000878C: 7E0C032E
	s_mov_b64 s[60:61], 0                                      // 000000008790: BEBC0180
	v_readlane_b32 s82, v3, 4                                  // 000000008794: D2890052 00010903
	s_and_b32 s82, s82, 0xffffff                               // 00000000879C: 8652FF52 00FFFFFF
	s_cmp_lt_u32 s82, s66                                      // 0000000087A4: BF0A4252
	s_cselect_b32 s20, s36, s60                                // 0000000087A8: 85143C24
	v_readlane_b32 s82, v3, 5                                  // 0000000087AC: D2890052 00010B03
	s_and_b32 s82, s82, 0xffffff                               // 0000000087B4: 8652FF52 00FFFFFF
	s_cmp_lt_u32 s82, s66                                      // 0000000087BC: BF0A4252
	s_cselect_b32 s21, s36, s60                                // 0000000087C0: 85153C24
	s_mov_b64 exec, s[20:21]                                   // 0000000087C4: BEFE0114
	global_atomic_add_f32 v6, v66, s[8:9] offset:8             // 0000000087C8: DD348008 00084206
	global_atomic_add_f32 v6, v70, s[8:9] offset:264           // 0000000087D0: DD348108 00084606
	s_mov_b64 exec, s[36:37]                                   // 0000000087D8: BEFE0124
	v_mov_b32_e32 v6, v47                                      // 0000000087DC: 7E0C032F
	s_mov_b64 s[60:61], 0                                      // 0000000087E0: BEBC0180
	v_readlane_b32 s82, v3, 6                                  // 0000000087E4: D2890052 00010D03
	s_and_b32 s82, s82, 0xffffff                               // 0000000087EC: 8652FF52 00FFFFFF
	s_cmp_lt_u32 s82, s66                                      // 0000000087F4: BF0A4252
	s_cselect_b32 s20, s36, s60                                // 0000000087F8: 85143C24
	v_readlane_b32 s82, v3, 7                                  // 0000000087FC: D2890052 00010F03
	s_and_b32 s82, s82, 0xffffff                               // 000000008804: 8652FF52 00FFFFFF
	s_cmp_lt_u32 s82, s66                                      // 00000000880C: BF0A4252
	s_cselect_b32 s21, s36, s60                                // 000000008810: 85153C24
	s_mov_b64 exec, s[20:21]                                   // 000000008814: BEFE0114
	global_atomic_add_f32 v6, v67, s[8:9] offset:8             // 000000008818: DD348008 00084306
	global_atomic_add_f32 v6, v71, s[8:9] offset:264           // 000000008820: DD348108 00084706
	s_mov_b64 exec, s[36:37]                                   // 000000008828: BEFE0124
	v_mov_b32_e32 v6, v48                                      // 00000000882C: 7E0C0330
	s_mov_b64 s[60:61], 0                                      // 000000008830: BEBC0180
	v_readlane_b32 s82, v3, 8                                  // 000000008834: D2890052 00011103
	s_and_b32 s82, s82, 0xffffff                               // 00000000883C: 8652FF52 00FFFFFF
	s_cmp_lt_u32 s82, s66                                      // 000000008844: BF0A4252
	s_cselect_b32 s20, s36, s60                                // 000000008848: 85143C24
	v_readlane_b32 s82, v3, 9                                  // 00000000884C: D2890052 00011303
	s_and_b32 s82, s82, 0xffffff                               // 000000008854: 8652FF52 00FFFFFF
	s_cmp_lt_u32 s82, s66                                      // 00000000885C: BF0A4252
	s_cselect_b32 s21, s36, s60                                // 000000008860: 85153C24
	s_mov_b64 exec, s[20:21]                                   // 000000008864: BEFE0114
	global_atomic_add_f32 v6, v74, s[8:9] offset:8             // 000000008868: DD348008 00084A06
	global_atomic_add_f32 v6, v78, s[8:9] offset:264           // 000000008870: DD348108 00084E06
	s_mov_b64 exec, s[36:37]                                   // 000000008878: BEFE0124
	v_mov_b32_e32 v6, v49                                      // 00000000887C: 7E0C0331
	s_mov_b64 s[60:61], 0                                      // 000000008880: BEBC0180
	v_readlane_b32 s82, v3, 10                                 // 000000008884: D2890052 00011503
	s_and_b32 s82, s82, 0xffffff                               // 00000000888C: 8652FF52 00FFFFFF
	s_cmp_lt_u32 s82, s66                                      // 000000008894: BF0A4252
	s_cselect_b32 s20, s36, s60                                // 000000008898: 85143C24
	v_readlane_b32 s82, v3, 11                                 // 00000000889C: D2890052 00011703
	s_and_b32 s82, s82, 0xffffff                               // 0000000088A4: 8652FF52 00FFFFFF
	s_cmp_lt_u32 s82, s66                                      // 0000000088AC: BF0A4252
	s_cselect_b32 s21, s36, s60                                // 0000000088B0: 85153C24
	s_mov_b64 exec, s[20:21]                                   // 0000000088B4: BEFE0114
	global_atomic_add_f32 v6, v75, s[8:9] offset:8             // 0000000088B8: DD348008 00084B06
	global_atomic_add_f32 v6, v79, s[8:9] offset:264           // 0000000088C0: DD348108 00084F06
	s_mov_b64 exec, s[36:37]                                   // 0000000088C8: BEFE0124
	v_mov_b32_e32 v6, v50                                      // 0000000088CC: 7E0C0332
	s_mov_b64 s[60:61], 0                                      // 0000000088D0: BEBC0180
	v_readlane_b32 s82, v3, 12                                 // 0000000088D4: D2890052 00011903
	s_and_b32 s82, s82, 0xffffff                               // 0000000088DC: 8652FF52 00FFFFFF
	s_cmp_lt_u32 s82, s66                                      // 0000000088E4: BF0A4252
	s_cselect_b32 s20, s36, s60                                // 0000000088E8: 85143C24
	v_readlane_b32 s82, v3, 13                                 // 0000000088EC: D2890052 00011B03
	s_and_b32 s82, s82, 0xffffff                               // 0000000088F4: 8652FF52 00FFFFFF
	s_cmp_lt_u32 s82, s66                                      // 0000000088FC: BF0A4252
	s_cselect_b32 s21, s36, s60                                // 000000008900: 85153C24
	s_mov_b64 exec, s[20:21]                                   // 000000008904: BEFE0114
	global_atomic_add_f32 v6, v82, s[8:9] offset:8             // 000000008908: DD348008 00085206
	global_atomic_add_f32 v6, v86, s[8:9] offset:264           // 000000008910: DD348108 00085606
	s_mov_b64 exec, s[36:37]                                   // 000000008918: BEFE0124
	v_mov_b32_e32 v6, v51                                      // 00000000891C: 7E0C0333
	s_mov_b64 s[60:61], 0                                      // 000000008920: BEBC0180
	v_readlane_b32 s82, v3, 14                                 // 000000008924: D2890052 00011D03
	s_and_b32 s82, s82, 0xffffff                               // 00000000892C: 8652FF52 00FFFFFF
	s_cmp_lt_u32 s82, s66                                      // 000000008934: BF0A4252
	s_cselect_b32 s20, s36, s60                                // 000000008938: 85143C24
	v_readlane_b32 s82, v3, 15                                 // 00000000893C: D2890052 00011F03
	s_and_b32 s82, s82, 0xffffff                               // 000000008944: 8652FF52 00FFFFFF
	s_cmp_lt_u32 s82, s66                                      // 00000000894C: BF0A4252
	s_cselect_b32 s21, s36, s60                                // 000000008950: 85153C24
	s_mov_b64 exec, s[20:21]                                   // 000000008954: BEFE0114
	global_atomic_add_f32 v6, v83, s[8:9] offset:8             // 000000008958: DD348008 00085306
	global_atomic_add_f32 v6, v87, s[8:9] offset:264           // 000000008960: DD348108 00085706
	s_mov_b64 exec, s[36:37]                                   // 000000008968: BEFE0124
	ds_write_b64 v20, v[88:89]                                 // 00000000896C: D89A0000 00005814
	ds_write_b64 v20, v[92:93] offset:4352                     // 000000008974: D89A1100 00005C14
	ds_write_b64 v20, v[96:97] offset:8704                     // 00000000897C: D89A2200 00006014
	ds_write_b64 v20, v[100:101] offset:13056                  // 000000008984: D89A3300 00006414
	ds_write_b64 v20, v[104:105] offset:2176                   // 00000000898C: D89A0880 00006814
	ds_write_b64 v20, v[108:109] offset:6528                   // 000000008994: D89A1980 00006C14
	ds_write_b64 v20, v[112:113] offset:10880                  // 00000000899C: D89A2A80 00007014
	ds_write_b64 v20, v[116:117] offset:15232                  // 0000000089A4: D89A3B80 00007414
	s_waitcnt lgkmcnt(0)                                       // 0000000089AC: BF8CC07F
	s_barrier                                                  // 0000000089B0: BF8A0000
	ds_read_b32 v88, v21                                       // 0000000089B4: D86C0000 58000015
	ds_read_b32 v89, v21 offset:64                             // 0000000089BC: D86C0040 59000015
	ds_read_b32 v92, v21 offset:2176                           // 0000000089C4: D86C0880 5C000015
	ds_read_b32 v93, v21 offset:2240                           // 0000000089CC: D86C08C0 5D000015
	ds_read_b32 v96, v21 offset:4352                           // 0000000089D4: D86C1100 60000015
	ds_read_b32 v97, v21 offset:4416                           // 0000000089DC: D86C1140 61000015
	ds_read_b32 v100, v21 offset:6528                          // 0000000089E4: D86C1980 64000015
	ds_read_b32 v101, v21 offset:6592                          // 0000000089EC: D86C19C0 65000015
	ds_read_b32 v104, v21 offset:8704                          // 0000000089F4: D86C2200 68000015
	ds_read_b32 v105, v21 offset:8768                          // 0000000089FC: D86C2240 69000015
	ds_read_b32 v108, v21 offset:10880                         // 000000008A04: D86C2A80 6C000015
	ds_read_b32 v109, v21 offset:10944                         // 000000008A0C: D86C2AC0 6D000015
	ds_read_b32 v112, v21 offset:13056                         // 000000008A14: D86C3300 70000015
	ds_read_b32 v113, v21 offset:13120                         // 000000008A1C: D86C3340 71000015
	ds_read_b32 v116, v21 offset:15232                         // 000000008A24: D86C3B80 74000015
	ds_read_b32 v117, v21 offset:15296                         // 000000008A2C: D86C3BC0 75000015
	s_mul_i32 s60, s65, 4                                      // 000000008A34: 923C8441
	s_add_u32 s8, s60, s8                                      // 000000008A38: 8008083C
	s_addc_u32 s9, 0, s9                                       // 000000008A3C: 82090980
	s_waitcnt lgkmcnt(0)                                       // 000000008A40: BF8CC07F
	v_mov_b32_e32 v7, 0                                        // 000000008A44: 7E0E0280
	s_mov_b64 exec, s[36:37]                                   // 000000008A48: BEFE0124
	v_mov_b32_e32 v6, v44                                      // 000000008A4C: 7E0C032C
	s_mov_b64 s[60:61], 0                                      // 000000008A50: BEBC0180
	v_readlane_b32 s82, v3, 0                                  // 000000008A54: D2890052 00010103
	s_and_b32 s82, s82, 0xffffff                               // 000000008A5C: 8652FF52 00FFFFFF
	s_cmp_lt_u32 s82, s66                                      // 000000008A64: BF0A4252
	s_cselect_b32 s20, s36, s60                                // 000000008A68: 85143C24
	v_readlane_b32 s82, v3, 1                                  // 000000008A6C: D2890052 00010303
	s_and_b32 s82, s82, 0xffffff                               // 000000008A74: 8652FF52 00FFFFFF
	s_cmp_lt_u32 s82, s66                                      // 000000008A7C: BF0A4252
	s_cselect_b32 s21, s36, s60                                // 000000008A80: 85153C24
	s_mov_b64 exec, s[20:21]                                   // 000000008A84: BEFE0114
	global_atomic_add_f32 v6, v88, s[8:9]                      // 000000008A88: DD348000 00085806
	global_atomic_add_f32 v6, v92, s[8:9] offset:256           // 000000008A90: DD348100 00085C06
	s_mov_b64 exec, s[36:37]                                   // 000000008A98: BEFE0124
	v_mov_b32_e32 v6, v45                                      // 000000008A9C: 7E0C032D
	s_mov_b64 s[60:61], 0                                      // 000000008AA0: BEBC0180
	v_readlane_b32 s82, v3, 2                                  // 000000008AA4: D2890052 00010503
	s_and_b32 s82, s82, 0xffffff                               // 000000008AAC: 8652FF52 00FFFFFF
	s_cmp_lt_u32 s82, s66                                      // 000000008AB4: BF0A4252
	s_cselect_b32 s20, s36, s60                                // 000000008AB8: 85143C24
	v_readlane_b32 s82, v3, 3                                  // 000000008ABC: D2890052 00010703
	s_and_b32 s82, s82, 0xffffff                               // 000000008AC4: 8652FF52 00FFFFFF
	s_cmp_lt_u32 s82, s66                                      // 000000008ACC: BF0A4252
	s_cselect_b32 s21, s36, s60                                // 000000008AD0: 85153C24
	s_mov_b64 exec, s[20:21]                                   // 000000008AD4: BEFE0114
	global_atomic_add_f32 v6, v89, s[8:9]                      // 000000008AD8: DD348000 00085906
	global_atomic_add_f32 v6, v93, s[8:9] offset:256           // 000000008AE0: DD348100 00085D06
	s_mov_b64 exec, s[36:37]                                   // 000000008AE8: BEFE0124
	v_mov_b32_e32 v6, v46                                      // 000000008AEC: 7E0C032E
	s_mov_b64 s[60:61], 0                                      // 000000008AF0: BEBC0180
	v_readlane_b32 s82, v3, 4                                  // 000000008AF4: D2890052 00010903
	s_and_b32 s82, s82, 0xffffff                               // 000000008AFC: 8652FF52 00FFFFFF
	s_cmp_lt_u32 s82, s66                                      // 000000008B04: BF0A4252
	s_cselect_b32 s20, s36, s60                                // 000000008B08: 85143C24
	v_readlane_b32 s82, v3, 5                                  // 000000008B0C: D2890052 00010B03
	s_and_b32 s82, s82, 0xffffff                               // 000000008B14: 8652FF52 00FFFFFF
	s_cmp_lt_u32 s82, s66                                      // 000000008B1C: BF0A4252
	s_cselect_b32 s21, s36, s60                                // 000000008B20: 85153C24
	s_mov_b64 exec, s[20:21]                                   // 000000008B24: BEFE0114
	global_atomic_add_f32 v6, v96, s[8:9]                      // 000000008B28: DD348000 00086006
	global_atomic_add_f32 v6, v100, s[8:9] offset:256          // 000000008B30: DD348100 00086406
	s_mov_b64 exec, s[36:37]                                   // 000000008B38: BEFE0124
	v_mov_b32_e32 v6, v47                                      // 000000008B3C: 7E0C032F
	s_mov_b64 s[60:61], 0                                      // 000000008B40: BEBC0180
	v_readlane_b32 s82, v3, 6                                  // 000000008B44: D2890052 00010D03
	s_and_b32 s82, s82, 0xffffff                               // 000000008B4C: 8652FF52 00FFFFFF
	s_cmp_lt_u32 s82, s66                                      // 000000008B54: BF0A4252
	s_cselect_b32 s20, s36, s60                                // 000000008B58: 85143C24
	v_readlane_b32 s82, v3, 7                                  // 000000008B5C: D2890052 00010F03
	s_and_b32 s82, s82, 0xffffff                               // 000000008B64: 8652FF52 00FFFFFF
	s_cmp_lt_u32 s82, s66                                      // 000000008B6C: BF0A4252
	s_cselect_b32 s21, s36, s60                                // 000000008B70: 85153C24
	s_mov_b64 exec, s[20:21]                                   // 000000008B74: BEFE0114
	global_atomic_add_f32 v6, v97, s[8:9]                      // 000000008B78: DD348000 00086106
	global_atomic_add_f32 v6, v101, s[8:9] offset:256          // 000000008B80: DD348100 00086506
	s_mov_b64 exec, s[36:37]                                   // 000000008B88: BEFE0124
	v_mov_b32_e32 v6, v48                                      // 000000008B8C: 7E0C0330
	s_mov_b64 s[60:61], 0                                      // 000000008B90: BEBC0180
	v_readlane_b32 s82, v3, 8                                  // 000000008B94: D2890052 00011103
	s_and_b32 s82, s82, 0xffffff                               // 000000008B9C: 8652FF52 00FFFFFF
	s_cmp_lt_u32 s82, s66                                      // 000000008BA4: BF0A4252
	s_cselect_b32 s20, s36, s60                                // 000000008BA8: 85143C24
	v_readlane_b32 s82, v3, 9                                  // 000000008BAC: D2890052 00011303
	s_and_b32 s82, s82, 0xffffff                               // 000000008BB4: 8652FF52 00FFFFFF
	s_cmp_lt_u32 s82, s66                                      // 000000008BBC: BF0A4252
	s_cselect_b32 s21, s36, s60                                // 000000008BC0: 85153C24
	s_mov_b64 exec, s[20:21]                                   // 000000008BC4: BEFE0114
	global_atomic_add_f32 v6, v104, s[8:9]                     // 000000008BC8: DD348000 00086806
	global_atomic_add_f32 v6, v108, s[8:9] offset:256          // 000000008BD0: DD348100 00086C06
	s_mov_b64 exec, s[36:37]                                   // 000000008BD8: BEFE0124
	v_mov_b32_e32 v6, v49                                      // 000000008BDC: 7E0C0331
	s_mov_b64 s[60:61], 0                                      // 000000008BE0: BEBC0180
	v_readlane_b32 s82, v3, 10                                 // 000000008BE4: D2890052 00011503
	s_and_b32 s82, s82, 0xffffff                               // 000000008BEC: 8652FF52 00FFFFFF
	s_cmp_lt_u32 s82, s66                                      // 000000008BF4: BF0A4252
	s_cselect_b32 s20, s36, s60                                // 000000008BF8: 85143C24
	v_readlane_b32 s82, v3, 11                                 // 000000008BFC: D2890052 00011703
	s_and_b32 s82, s82, 0xffffff                               // 000000008C04: 8652FF52 00FFFFFF
	s_cmp_lt_u32 s82, s66                                      // 000000008C0C: BF0A4252
	s_cselect_b32 s21, s36, s60                                // 000000008C10: 85153C24
	s_mov_b64 exec, s[20:21]                                   // 000000008C14: BEFE0114
	global_atomic_add_f32 v6, v105, s[8:9]                     // 000000008C18: DD348000 00086906
	global_atomic_add_f32 v6, v109, s[8:9] offset:256          // 000000008C20: DD348100 00086D06
	s_mov_b64 exec, s[36:37]                                   // 000000008C28: BEFE0124
	v_mov_b32_e32 v6, v50                                      // 000000008C2C: 7E0C0332
	s_mov_b64 s[60:61], 0                                      // 000000008C30: BEBC0180
	v_readlane_b32 s82, v3, 12                                 // 000000008C34: D2890052 00011903
	s_and_b32 s82, s82, 0xffffff                               // 000000008C3C: 8652FF52 00FFFFFF
	s_cmp_lt_u32 s82, s66                                      // 000000008C44: BF0A4252
	s_cselect_b32 s20, s36, s60                                // 000000008C48: 85143C24
	v_readlane_b32 s82, v3, 13                                 // 000000008C4C: D2890052 00011B03
	s_and_b32 s82, s82, 0xffffff                               // 000000008C54: 8652FF52 00FFFFFF
	s_cmp_lt_u32 s82, s66                                      // 000000008C5C: BF0A4252
	s_cselect_b32 s21, s36, s60                                // 000000008C60: 85153C24
	s_mov_b64 exec, s[20:21]                                   // 000000008C64: BEFE0114
	global_atomic_add_f32 v6, v112, s[8:9]                     // 000000008C68: DD348000 00087006
	global_atomic_add_f32 v6, v116, s[8:9] offset:256          // 000000008C70: DD348100 00087406
	s_mov_b64 exec, s[36:37]                                   // 000000008C78: BEFE0124
	v_mov_b32_e32 v6, v51                                      // 000000008C7C: 7E0C0333
	s_mov_b64 s[60:61], 0                                      // 000000008C80: BEBC0180
	v_readlane_b32 s82, v3, 14                                 // 000000008C84: D2890052 00011D03
	s_and_b32 s82, s82, 0xffffff                               // 000000008C8C: 8652FF52 00FFFFFF
	s_cmp_lt_u32 s82, s66                                      // 000000008C94: BF0A4252
	s_cselect_b32 s20, s36, s60                                // 000000008C98: 85143C24
	v_readlane_b32 s82, v3, 15                                 // 000000008C9C: D2890052 00011F03
	s_and_b32 s82, s82, 0xffffff                               // 000000008CA4: 8652FF52 00FFFFFF
	s_cmp_lt_u32 s82, s66                                      // 000000008CAC: BF0A4252
	s_cselect_b32 s21, s36, s60                                // 000000008CB0: 85153C24
	s_mov_b64 exec, s[20:21]                                   // 000000008CB4: BEFE0114
	global_atomic_add_f32 v6, v113, s[8:9]                     // 000000008CB8: DD348000 00087106
	global_atomic_add_f32 v6, v117, s[8:9] offset:256          // 000000008CC0: DD348100 00087506
	s_mov_b64 exec, s[36:37]                                   // 000000008CC8: BEFE0124
	ds_write_b64 v20, v[90:91]                                 // 000000008CCC: D89A0000 00005A14
	ds_write_b64 v20, v[94:95] offset:4352                     // 000000008CD4: D89A1100 00005E14
	ds_write_b64 v20, v[98:99] offset:8704                     // 000000008CDC: D89A2200 00006214
	ds_write_b64 v20, v[102:103] offset:13056                  // 000000008CE4: D89A3300 00006614
	ds_write_b64 v20, v[106:107] offset:2176                   // 000000008CEC: D89A0880 00006A14
	ds_write_b64 v20, v[110:111] offset:6528                   // 000000008CF4: D89A1980 00006E14
	ds_write_b64 v20, v[114:115] offset:10880                  // 000000008CFC: D89A2A80 00007214
	ds_write_b64 v20, v[118:119] offset:15232                  // 000000008D04: D89A3B80 00007614
	s_waitcnt lgkmcnt(0)                                       // 000000008D0C: BF8CC07F
	s_barrier                                                  // 000000008D10: BF8A0000
	ds_read_b32 v90, v21                                       // 000000008D14: D86C0000 5A000015
	ds_read_b32 v91, v21 offset:64                             // 000000008D1C: D86C0040 5B000015
	ds_read_b32 v94, v21 offset:2176                           // 000000008D24: D86C0880 5E000015
	ds_read_b32 v95, v21 offset:2240                           // 000000008D2C: D86C08C0 5F000015
	ds_read_b32 v98, v21 offset:4352                           // 000000008D34: D86C1100 62000015
	ds_read_b32 v99, v21 offset:4416                           // 000000008D3C: D86C1140 63000015
	ds_read_b32 v102, v21 offset:6528                          // 000000008D44: D86C1980 66000015
	ds_read_b32 v103, v21 offset:6592                          // 000000008D4C: D86C19C0 67000015
	ds_read_b32 v106, v21 offset:8704                          // 000000008D54: D86C2200 6A000015
	ds_read_b32 v107, v21 offset:8768                          // 000000008D5C: D86C2240 6B000015
	ds_read_b32 v110, v21 offset:10880                         // 000000008D64: D86C2A80 6E000015
	ds_read_b32 v111, v21 offset:10944                         // 000000008D6C: D86C2AC0 6F000015
	ds_read_b32 v114, v21 offset:13056                         // 000000008D74: D86C3300 72000015
	ds_read_b32 v115, v21 offset:13120                         // 000000008D7C: D86C3340 73000015
	ds_read_b32 v118, v21 offset:15232                         // 000000008D84: D86C3B80 76000015
	ds_read_b32 v119, v21 offset:15296                         // 000000008D8C: D86C3BC0 77000015
	s_waitcnt lgkmcnt(0)                                       // 000000008D94: BF8CC07F
	v_mov_b32_e32 v7, 0                                        // 000000008D98: 7E0E0280
	s_mov_b64 exec, s[36:37]                                   // 000000008D9C: BEFE0124
	v_mov_b32_e32 v6, v44                                      // 000000008DA0: 7E0C032C
	s_mov_b64 s[60:61], 0                                      // 000000008DA4: BEBC0180
	v_readlane_b32 s82, v3, 0                                  // 000000008DA8: D2890052 00010103
	s_and_b32 s82, s82, 0xffffff                               // 000000008DB0: 8652FF52 00FFFFFF
	s_cmp_lt_u32 s82, s66                                      // 000000008DB8: BF0A4252
	s_cselect_b32 s20, s36, s60                                // 000000008DBC: 85143C24
	v_readlane_b32 s82, v3, 1                                  // 000000008DC0: D2890052 00010303
	s_and_b32 s82, s82, 0xffffff                               // 000000008DC8: 8652FF52 00FFFFFF
	s_cmp_lt_u32 s82, s66                                      // 000000008DD0: BF0A4252
	s_cselect_b32 s21, s36, s60                                // 000000008DD4: 85153C24
	s_mov_b64 exec, s[20:21]                                   // 000000008DD8: BEFE0114
	global_atomic_add_f32 v6, v90, s[8:9] offset:8             // 000000008DDC: DD348008 00085A06
	global_atomic_add_f32 v6, v94, s[8:9] offset:264           // 000000008DE4: DD348108 00085E06
	s_mov_b64 exec, s[36:37]                                   // 000000008DEC: BEFE0124
	v_mov_b32_e32 v6, v45                                      // 000000008DF0: 7E0C032D
	s_mov_b64 s[60:61], 0                                      // 000000008DF4: BEBC0180
	v_readlane_b32 s82, v3, 2                                  // 000000008DF8: D2890052 00010503
	s_and_b32 s82, s82, 0xffffff                               // 000000008E00: 8652FF52 00FFFFFF
	s_cmp_lt_u32 s82, s66                                      // 000000008E08: BF0A4252
	s_cselect_b32 s20, s36, s60                                // 000000008E0C: 85143C24
	v_readlane_b32 s82, v3, 3                                  // 000000008E10: D2890052 00010703
	s_and_b32 s82, s82, 0xffffff                               // 000000008E18: 8652FF52 00FFFFFF
	s_cmp_lt_u32 s82, s66                                      // 000000008E20: BF0A4252
	s_cselect_b32 s21, s36, s60                                // 000000008E24: 85153C24
	s_mov_b64 exec, s[20:21]                                   // 000000008E28: BEFE0114
	global_atomic_add_f32 v6, v91, s[8:9] offset:8             // 000000008E2C: DD348008 00085B06
	global_atomic_add_f32 v6, v95, s[8:9] offset:264           // 000000008E34: DD348108 00085F06
	s_mov_b64 exec, s[36:37]                                   // 000000008E3C: BEFE0124
	v_mov_b32_e32 v6, v46                                      // 000000008E40: 7E0C032E
	s_mov_b64 s[60:61], 0                                      // 000000008E44: BEBC0180
	v_readlane_b32 s82, v3, 4                                  // 000000008E48: D2890052 00010903
	s_and_b32 s82, s82, 0xffffff                               // 000000008E50: 8652FF52 00FFFFFF
	s_cmp_lt_u32 s82, s66                                      // 000000008E58: BF0A4252
	s_cselect_b32 s20, s36, s60                                // 000000008E5C: 85143C24
	v_readlane_b32 s82, v3, 5                                  // 000000008E60: D2890052 00010B03
	s_and_b32 s82, s82, 0xffffff                               // 000000008E68: 8652FF52 00FFFFFF
	s_cmp_lt_u32 s82, s66                                      // 000000008E70: BF0A4252
	s_cselect_b32 s21, s36, s60                                // 000000008E74: 85153C24
	s_mov_b64 exec, s[20:21]                                   // 000000008E78: BEFE0114
	global_atomic_add_f32 v6, v98, s[8:9] offset:8             // 000000008E7C: DD348008 00086206
	global_atomic_add_f32 v6, v102, s[8:9] offset:264          // 000000008E84: DD348108 00086606
	s_mov_b64 exec, s[36:37]                                   // 000000008E8C: BEFE0124
	v_mov_b32_e32 v6, v47                                      // 000000008E90: 7E0C032F
	s_mov_b64 s[60:61], 0                                      // 000000008E94: BEBC0180
	v_readlane_b32 s82, v3, 6                                  // 000000008E98: D2890052 00010D03
	s_and_b32 s82, s82, 0xffffff                               // 000000008EA0: 8652FF52 00FFFFFF
	s_cmp_lt_u32 s82, s66                                      // 000000008EA8: BF0A4252
	s_cselect_b32 s20, s36, s60                                // 000000008EAC: 85143C24
	v_readlane_b32 s82, v3, 7                                  // 000000008EB0: D2890052 00010F03
	s_and_b32 s82, s82, 0xffffff                               // 000000008EB8: 8652FF52 00FFFFFF
	s_cmp_lt_u32 s82, s66                                      // 000000008EC0: BF0A4252
	s_cselect_b32 s21, s36, s60                                // 000000008EC4: 85153C24
	s_mov_b64 exec, s[20:21]                                   // 000000008EC8: BEFE0114
	global_atomic_add_f32 v6, v99, s[8:9] offset:8             // 000000008ECC: DD348008 00086306
	global_atomic_add_f32 v6, v103, s[8:9] offset:264          // 000000008ED4: DD348108 00086706
	s_mov_b64 exec, s[36:37]                                   // 000000008EDC: BEFE0124
	v_mov_b32_e32 v6, v48                                      // 000000008EE0: 7E0C0330
	s_mov_b64 s[60:61], 0                                      // 000000008EE4: BEBC0180
	v_readlane_b32 s82, v3, 8                                  // 000000008EE8: D2890052 00011103
	s_and_b32 s82, s82, 0xffffff                               // 000000008EF0: 8652FF52 00FFFFFF
	s_cmp_lt_u32 s82, s66                                      // 000000008EF8: BF0A4252
	s_cselect_b32 s20, s36, s60                                // 000000008EFC: 85143C24
	v_readlane_b32 s82, v3, 9                                  // 000000008F00: D2890052 00011303
	s_and_b32 s82, s82, 0xffffff                               // 000000008F08: 8652FF52 00FFFFFF
	s_cmp_lt_u32 s82, s66                                      // 000000008F10: BF0A4252
	s_cselect_b32 s21, s36, s60                                // 000000008F14: 85153C24
	s_mov_b64 exec, s[20:21]                                   // 000000008F18: BEFE0114
	global_atomic_add_f32 v6, v106, s[8:9] offset:8            // 000000008F1C: DD348008 00086A06
	global_atomic_add_f32 v6, v110, s[8:9] offset:264          // 000000008F24: DD348108 00086E06
	s_mov_b64 exec, s[36:37]                                   // 000000008F2C: BEFE0124
	v_mov_b32_e32 v6, v49                                      // 000000008F30: 7E0C0331
	s_mov_b64 s[60:61], 0                                      // 000000008F34: BEBC0180
	v_readlane_b32 s82, v3, 10                                 // 000000008F38: D2890052 00011503
	s_and_b32 s82, s82, 0xffffff                               // 000000008F40: 8652FF52 00FFFFFF
	s_cmp_lt_u32 s82, s66                                      // 000000008F48: BF0A4252
	s_cselect_b32 s20, s36, s60                                // 000000008F4C: 85143C24
	v_readlane_b32 s82, v3, 11                                 // 000000008F50: D2890052 00011703
	s_and_b32 s82, s82, 0xffffff                               // 000000008F58: 8652FF52 00FFFFFF
	s_cmp_lt_u32 s82, s66                                      // 000000008F60: BF0A4252
	s_cselect_b32 s21, s36, s60                                // 000000008F64: 85153C24
	s_mov_b64 exec, s[20:21]                                   // 000000008F68: BEFE0114
	global_atomic_add_f32 v6, v107, s[8:9] offset:8            // 000000008F6C: DD348008 00086B06
	global_atomic_add_f32 v6, v111, s[8:9] offset:264          // 000000008F74: DD348108 00086F06
	s_mov_b64 exec, s[36:37]                                   // 000000008F7C: BEFE0124
	v_mov_b32_e32 v6, v50                                      // 000000008F80: 7E0C0332
	s_mov_b64 s[60:61], 0                                      // 000000008F84: BEBC0180
	v_readlane_b32 s82, v3, 12                                 // 000000008F88: D2890052 00011903
	s_and_b32 s82, s82, 0xffffff                               // 000000008F90: 8652FF52 00FFFFFF
	s_cmp_lt_u32 s82, s66                                      // 000000008F98: BF0A4252
	s_cselect_b32 s20, s36, s60                                // 000000008F9C: 85143C24
	v_readlane_b32 s82, v3, 13                                 // 000000008FA0: D2890052 00011B03
	s_and_b32 s82, s82, 0xffffff                               // 000000008FA8: 8652FF52 00FFFFFF
	s_cmp_lt_u32 s82, s66                                      // 000000008FB0: BF0A4252
	s_cselect_b32 s21, s36, s60                                // 000000008FB4: 85153C24
	s_mov_b64 exec, s[20:21]                                   // 000000008FB8: BEFE0114
	global_atomic_add_f32 v6, v114, s[8:9] offset:8            // 000000008FBC: DD348008 00087206
	global_atomic_add_f32 v6, v118, s[8:9] offset:264          // 000000008FC4: DD348108 00087606
	s_mov_b64 exec, s[36:37]                                   // 000000008FCC: BEFE0124
	v_mov_b32_e32 v6, v51                                      // 000000008FD0: 7E0C0333
	s_mov_b64 s[60:61], 0                                      // 000000008FD4: BEBC0180
	v_readlane_b32 s82, v3, 14                                 // 000000008FD8: D2890052 00011D03
	s_and_b32 s82, s82, 0xffffff                               // 000000008FE0: 8652FF52 00FFFFFF
	s_cmp_lt_u32 s82, s66                                      // 000000008FE8: BF0A4252
	s_cselect_b32 s20, s36, s60                                // 000000008FEC: 85143C24
	v_readlane_b32 s82, v3, 15                                 // 000000008FF0: D2890052 00011F03
	s_and_b32 s82, s82, 0xffffff                               // 000000008FF8: 8652FF52 00FFFFFF
	s_cmp_lt_u32 s82, s66                                      // 000000009000: BF0A4252
	s_cselect_b32 s21, s36, s60                                // 000000009004: 85153C24
	s_mov_b64 exec, s[20:21]                                   // 000000009008: BEFE0114
	global_atomic_add_f32 v6, v115, s[8:9] offset:8            // 00000000900C: DD348008 00087306
	global_atomic_add_f32 v6, v119, s[8:9] offset:264          // 000000009014: DD348108 00087706
	s_mov_b64 exec, s[36:37]                                   // 00000000901C: BEFE0124
	s_branch label_198C                                        // 000000009020: BF820000

0000000000009024 <label_198C>:
	s_waitcnt vmcnt(0) expcnt(0) lgkmcnt(0)                    // 000000009024: BF8C0000
	s_endpgm                                                   // 000000009028: BF810000
